;; amdgpu-corpus repo=ROCm/rocFFT kind=compiled arch=gfx1201 opt=O3
	.text
	.amdgcn_target "amdgcn-amd-amdhsa--gfx1201"
	.amdhsa_code_object_version 6
	.protected	fft_rtc_back_len1683_factors_17_3_11_3_wgs_51_tpt_51_halfLds_half_op_CI_CI_sbrr_dirReg ; -- Begin function fft_rtc_back_len1683_factors_17_3_11_3_wgs_51_tpt_51_halfLds_half_op_CI_CI_sbrr_dirReg
	.globl	fft_rtc_back_len1683_factors_17_3_11_3_wgs_51_tpt_51_halfLds_half_op_CI_CI_sbrr_dirReg
	.p2align	8
	.type	fft_rtc_back_len1683_factors_17_3_11_3_wgs_51_tpt_51_halfLds_half_op_CI_CI_sbrr_dirReg,@function
fft_rtc_back_len1683_factors_17_3_11_3_wgs_51_tpt_51_halfLds_half_op_CI_CI_sbrr_dirReg: ; @fft_rtc_back_len1683_factors_17_3_11_3_wgs_51_tpt_51_halfLds_half_op_CI_CI_sbrr_dirReg
; %bb.0:
	s_clause 0x2
	s_load_b128 s[12:15], s[0:1], 0x18
	s_load_b128 s[8:11], s[0:1], 0x0
	;; [unrolled: 1-line block ×3, first 2 shown]
	v_mul_u32_u24_e32 v1, 0x506, v0
	v_mov_b32_e32 v7, 0
	v_mov_b32_e32 v5, 0
	;; [unrolled: 1-line block ×3, first 2 shown]
	s_wait_kmcnt 0x0
	s_load_b64 s[18:19], s[12:13], 0x0
	s_load_b64 s[16:17], s[14:15], 0x0
	v_lshrrev_b32_e32 v1, 16, v1
	v_cmp_lt_u64_e64 s2, s[10:11], 2
	s_delay_alu instid0(VALU_DEP_2) | instskip(NEXT) | instid1(VALU_DEP_2)
	v_dual_mov_b32 v10, v7 :: v_dual_add_nc_u32 v9, ttmp9, v1
	s_and_b32 vcc_lo, exec_lo, s2
	s_cbranch_vccnz .LBB0_8
; %bb.1:
	s_load_b64 s[2:3], s[0:1], 0x10
	v_mov_b32_e32 v5, 0
	v_mov_b32_e32 v6, 0
	s_delay_alu instid0(VALU_DEP_2)
	v_mov_b32_e32 v1, v5
	s_add_nc_u64 s[20:21], s[14:15], 8
	s_add_nc_u64 s[22:23], s[12:13], 8
	s_mov_b64 s[24:25], 1
	v_mov_b32_e32 v2, v6
	s_wait_kmcnt 0x0
	s_add_nc_u64 s[26:27], s[2:3], 8
	s_mov_b32 s3, 0
.LBB0_2:                                ; =>This Inner Loop Header: Depth=1
	s_load_b64 s[28:29], s[26:27], 0x0
                                        ; implicit-def: $vgpr3_vgpr4
	s_mov_b32 s2, exec_lo
	s_wait_kmcnt 0x0
	v_or_b32_e32 v8, s29, v10
	s_delay_alu instid0(VALU_DEP_1)
	v_cmpx_ne_u64_e32 0, v[7:8]
	s_wait_alu 0xfffe
	s_xor_b32 s30, exec_lo, s2
	s_cbranch_execz .LBB0_4
; %bb.3:                                ;   in Loop: Header=BB0_2 Depth=1
	s_cvt_f32_u32 s2, s28
	s_cvt_f32_u32 s31, s29
	s_sub_nc_u64 s[36:37], 0, s[28:29]
	s_wait_alu 0xfffe
	s_delay_alu instid0(SALU_CYCLE_1) | instskip(SKIP_1) | instid1(SALU_CYCLE_2)
	s_fmamk_f32 s2, s31, 0x4f800000, s2
	s_wait_alu 0xfffe
	v_s_rcp_f32 s2, s2
	s_delay_alu instid0(TRANS32_DEP_1) | instskip(SKIP_1) | instid1(SALU_CYCLE_2)
	s_mul_f32 s2, s2, 0x5f7ffffc
	s_wait_alu 0xfffe
	s_mul_f32 s31, s2, 0x2f800000
	s_wait_alu 0xfffe
	s_delay_alu instid0(SALU_CYCLE_2) | instskip(SKIP_1) | instid1(SALU_CYCLE_2)
	s_trunc_f32 s31, s31
	s_wait_alu 0xfffe
	s_fmamk_f32 s2, s31, 0xcf800000, s2
	s_cvt_u32_f32 s35, s31
	s_wait_alu 0xfffe
	s_delay_alu instid0(SALU_CYCLE_1) | instskip(SKIP_1) | instid1(SALU_CYCLE_2)
	s_cvt_u32_f32 s34, s2
	s_wait_alu 0xfffe
	s_mul_u64 s[38:39], s[36:37], s[34:35]
	s_wait_alu 0xfffe
	s_mul_hi_u32 s41, s34, s39
	s_mul_i32 s40, s34, s39
	s_mul_hi_u32 s2, s34, s38
	s_mul_i32 s33, s35, s38
	s_wait_alu 0xfffe
	s_add_nc_u64 s[40:41], s[2:3], s[40:41]
	s_mul_hi_u32 s31, s35, s38
	s_mul_hi_u32 s42, s35, s39
	s_add_co_u32 s2, s40, s33
	s_wait_alu 0xfffe
	s_add_co_ci_u32 s2, s41, s31
	s_mul_i32 s38, s35, s39
	s_add_co_ci_u32 s39, s42, 0
	s_wait_alu 0xfffe
	s_add_nc_u64 s[38:39], s[2:3], s[38:39]
	s_wait_alu 0xfffe
	v_add_co_u32 v3, s2, s34, s38
	s_delay_alu instid0(VALU_DEP_1) | instskip(SKIP_1) | instid1(VALU_DEP_1)
	s_cmp_lg_u32 s2, 0
	s_add_co_ci_u32 s35, s35, s39
	v_readfirstlane_b32 s34, v3
	s_wait_alu 0xfffe
	s_delay_alu instid0(VALU_DEP_1)
	s_mul_u64 s[36:37], s[36:37], s[34:35]
	s_wait_alu 0xfffe
	s_mul_hi_u32 s39, s34, s37
	s_mul_i32 s38, s34, s37
	s_mul_hi_u32 s2, s34, s36
	s_mul_i32 s33, s35, s36
	s_wait_alu 0xfffe
	s_add_nc_u64 s[38:39], s[2:3], s[38:39]
	s_mul_hi_u32 s31, s35, s36
	s_mul_hi_u32 s34, s35, s37
	s_wait_alu 0xfffe
	s_add_co_u32 s2, s38, s33
	s_add_co_ci_u32 s2, s39, s31
	s_mul_i32 s36, s35, s37
	s_add_co_ci_u32 s37, s34, 0
	s_wait_alu 0xfffe
	s_add_nc_u64 s[36:37], s[2:3], s[36:37]
	s_wait_alu 0xfffe
	v_add_co_u32 v8, s2, v3, s36
	s_delay_alu instid0(VALU_DEP_1) | instskip(SKIP_1) | instid1(VALU_DEP_1)
	s_cmp_lg_u32 s2, 0
	s_add_co_ci_u32 s2, s35, s37
	v_mul_hi_u32 v15, v9, v8
	s_wait_alu 0xfffe
	v_mad_co_u64_u32 v[3:4], null, v9, s2, 0
	v_mad_co_u64_u32 v[11:12], null, v10, v8, 0
	;; [unrolled: 1-line block ×3, first 2 shown]
	s_delay_alu instid0(VALU_DEP_3) | instskip(SKIP_1) | instid1(VALU_DEP_4)
	v_add_co_u32 v3, vcc_lo, v15, v3
	s_wait_alu 0xfffd
	v_add_co_ci_u32_e32 v4, vcc_lo, 0, v4, vcc_lo
	s_delay_alu instid0(VALU_DEP_2) | instskip(SKIP_1) | instid1(VALU_DEP_2)
	v_add_co_u32 v3, vcc_lo, v3, v11
	s_wait_alu 0xfffd
	v_add_co_ci_u32_e32 v3, vcc_lo, v4, v12, vcc_lo
	s_wait_alu 0xfffd
	v_add_co_ci_u32_e32 v4, vcc_lo, 0, v14, vcc_lo
	s_delay_alu instid0(VALU_DEP_2) | instskip(SKIP_1) | instid1(VALU_DEP_2)
	v_add_co_u32 v8, vcc_lo, v3, v13
	s_wait_alu 0xfffd
	v_add_co_ci_u32_e32 v11, vcc_lo, 0, v4, vcc_lo
	s_delay_alu instid0(VALU_DEP_2) | instskip(SKIP_1) | instid1(VALU_DEP_3)
	v_mul_lo_u32 v12, s29, v8
	v_mad_co_u64_u32 v[3:4], null, s28, v8, 0
	v_mul_lo_u32 v13, s28, v11
	s_delay_alu instid0(VALU_DEP_2) | instskip(NEXT) | instid1(VALU_DEP_2)
	v_sub_co_u32 v3, vcc_lo, v9, v3
	v_add3_u32 v4, v4, v13, v12
	s_delay_alu instid0(VALU_DEP_1) | instskip(SKIP_1) | instid1(VALU_DEP_1)
	v_sub_nc_u32_e32 v12, v10, v4
	s_wait_alu 0xfffd
	v_subrev_co_ci_u32_e64 v12, s2, s29, v12, vcc_lo
	v_add_co_u32 v13, s2, v8, 2
	s_wait_alu 0xf1ff
	v_add_co_ci_u32_e64 v14, s2, 0, v11, s2
	v_sub_co_u32 v15, s2, v3, s28
	v_sub_co_ci_u32_e32 v4, vcc_lo, v10, v4, vcc_lo
	s_wait_alu 0xf1ff
	v_subrev_co_ci_u32_e64 v12, s2, 0, v12, s2
	s_delay_alu instid0(VALU_DEP_3) | instskip(NEXT) | instid1(VALU_DEP_3)
	v_cmp_le_u32_e32 vcc_lo, s28, v15
	v_cmp_eq_u32_e64 s2, s29, v4
	s_wait_alu 0xfffd
	v_cndmask_b32_e64 v15, 0, -1, vcc_lo
	v_cmp_le_u32_e32 vcc_lo, s29, v12
	s_wait_alu 0xfffd
	v_cndmask_b32_e64 v16, 0, -1, vcc_lo
	v_cmp_le_u32_e32 vcc_lo, s28, v3
	;; [unrolled: 3-line block ×3, first 2 shown]
	s_wait_alu 0xfffd
	v_cndmask_b32_e64 v17, 0, -1, vcc_lo
	v_cmp_eq_u32_e32 vcc_lo, s29, v12
	s_wait_alu 0xf1ff
	s_delay_alu instid0(VALU_DEP_2)
	v_cndmask_b32_e64 v3, v17, v3, s2
	s_wait_alu 0xfffd
	v_cndmask_b32_e32 v12, v16, v15, vcc_lo
	v_add_co_u32 v15, vcc_lo, v8, 1
	s_wait_alu 0xfffd
	v_add_co_ci_u32_e32 v16, vcc_lo, 0, v11, vcc_lo
	s_delay_alu instid0(VALU_DEP_3) | instskip(SKIP_1) | instid1(VALU_DEP_2)
	v_cmp_ne_u32_e32 vcc_lo, 0, v12
	s_wait_alu 0xfffd
	v_cndmask_b32_e32 v4, v16, v14, vcc_lo
	v_cndmask_b32_e32 v12, v15, v13, vcc_lo
	v_cmp_ne_u32_e32 vcc_lo, 0, v3
	s_wait_alu 0xfffd
	s_delay_alu instid0(VALU_DEP_3) | instskip(NEXT) | instid1(VALU_DEP_3)
	v_cndmask_b32_e32 v4, v11, v4, vcc_lo
	v_cndmask_b32_e32 v3, v8, v12, vcc_lo
.LBB0_4:                                ;   in Loop: Header=BB0_2 Depth=1
	s_wait_alu 0xfffe
	s_and_not1_saveexec_b32 s2, s30
	s_cbranch_execz .LBB0_6
; %bb.5:                                ;   in Loop: Header=BB0_2 Depth=1
	v_cvt_f32_u32_e32 v3, s28
	s_sub_co_i32 s30, 0, s28
	s_delay_alu instid0(VALU_DEP_1) | instskip(NEXT) | instid1(TRANS32_DEP_1)
	v_rcp_iflag_f32_e32 v3, v3
	v_mul_f32_e32 v3, 0x4f7ffffe, v3
	s_delay_alu instid0(VALU_DEP_1) | instskip(SKIP_1) | instid1(VALU_DEP_1)
	v_cvt_u32_f32_e32 v3, v3
	s_wait_alu 0xfffe
	v_mul_lo_u32 v4, s30, v3
	s_delay_alu instid0(VALU_DEP_1) | instskip(NEXT) | instid1(VALU_DEP_1)
	v_mul_hi_u32 v4, v3, v4
	v_add_nc_u32_e32 v3, v3, v4
	s_delay_alu instid0(VALU_DEP_1) | instskip(NEXT) | instid1(VALU_DEP_1)
	v_mul_hi_u32 v3, v9, v3
	v_mul_lo_u32 v4, v3, s28
	v_add_nc_u32_e32 v8, 1, v3
	s_delay_alu instid0(VALU_DEP_2) | instskip(NEXT) | instid1(VALU_DEP_1)
	v_sub_nc_u32_e32 v4, v9, v4
	v_subrev_nc_u32_e32 v11, s28, v4
	v_cmp_le_u32_e32 vcc_lo, s28, v4
	s_wait_alu 0xfffd
	s_delay_alu instid0(VALU_DEP_2) | instskip(NEXT) | instid1(VALU_DEP_1)
	v_dual_cndmask_b32 v4, v4, v11 :: v_dual_cndmask_b32 v3, v3, v8
	v_cmp_le_u32_e32 vcc_lo, s28, v4
	s_delay_alu instid0(VALU_DEP_2) | instskip(SKIP_2) | instid1(VALU_DEP_2)
	v_add_nc_u32_e32 v8, 1, v3
	v_mov_b32_e32 v4, v7
	s_wait_alu 0xfffd
	v_cndmask_b32_e32 v3, v3, v8, vcc_lo
.LBB0_6:                                ;   in Loop: Header=BB0_2 Depth=1
	s_wait_alu 0xfffe
	s_or_b32 exec_lo, exec_lo, s2
	v_mul_lo_u32 v8, v4, s28
	s_delay_alu instid0(VALU_DEP_2)
	v_mul_lo_u32 v13, v3, s29
	s_load_b64 s[30:31], s[22:23], 0x0
	v_mad_co_u64_u32 v[11:12], null, v3, s28, 0
	s_load_b64 s[28:29], s[20:21], 0x0
	s_add_nc_u64 s[24:25], s[24:25], 1
	s_add_nc_u64 s[20:21], s[20:21], 8
	s_wait_alu 0xfffe
	v_cmp_ge_u64_e64 s2, s[24:25], s[10:11]
	s_add_nc_u64 s[22:23], s[22:23], 8
	s_add_nc_u64 s[26:27], s[26:27], 8
	v_add3_u32 v8, v12, v13, v8
	v_sub_co_u32 v9, vcc_lo, v9, v11
	s_wait_alu 0xfffd
	s_delay_alu instid0(VALU_DEP_2) | instskip(SKIP_2) | instid1(VALU_DEP_1)
	v_sub_co_ci_u32_e32 v8, vcc_lo, v10, v8, vcc_lo
	s_and_b32 vcc_lo, exec_lo, s2
	s_wait_kmcnt 0x0
	v_mul_lo_u32 v10, s30, v8
	v_mul_lo_u32 v11, s31, v9
	v_mad_co_u64_u32 v[5:6], null, s30, v9, v[5:6]
	v_mul_lo_u32 v8, s28, v8
	v_mul_lo_u32 v12, s29, v9
	v_mad_co_u64_u32 v[1:2], null, s28, v9, v[1:2]
	s_delay_alu instid0(VALU_DEP_4) | instskip(NEXT) | instid1(VALU_DEP_2)
	v_add3_u32 v6, v11, v6, v10
	v_add3_u32 v2, v12, v2, v8
	s_wait_alu 0xfffe
	s_cbranch_vccnz .LBB0_9
; %bb.7:                                ;   in Loop: Header=BB0_2 Depth=1
	v_dual_mov_b32 v10, v4 :: v_dual_mov_b32 v9, v3
	s_branch .LBB0_2
.LBB0_8:
	v_dual_mov_b32 v1, v5 :: v_dual_mov_b32 v2, v6
	s_delay_alu instid0(VALU_DEP_2)
	v_dual_mov_b32 v3, v9 :: v_dual_mov_b32 v4, v10
.LBB0_9:
	s_load_b64 s[0:1], s[0:1], 0x28
	v_mul_hi_u32 v76, 0x5050506, v0
	s_lshl_b64 s[10:11], s[10:11], 3
                                        ; implicit-def: $vgpr7
	s_wait_alu 0xfffe
	s_add_nc_u64 s[2:3], s[14:15], s[10:11]
                                        ; implicit-def: $sgpr14
	s_wait_kmcnt 0x0
	v_cmp_gt_u64_e32 vcc_lo, s[0:1], v[3:4]
	v_cmp_le_u64_e64 s0, s[0:1], v[3:4]
	s_delay_alu instid0(VALU_DEP_1)
	s_and_saveexec_b32 s1, s0
	s_wait_alu 0xfffe
	s_xor_b32 s0, exec_lo, s1
; %bb.10:
	v_mul_u32_u24_e32 v5, 51, v76
	s_mov_b32 s14, 0
                                        ; implicit-def: $vgpr76
	s_delay_alu instid0(VALU_DEP_1)
	v_sub_nc_u32_e32 v7, v0, v5
                                        ; implicit-def: $vgpr0
                                        ; implicit-def: $vgpr5_vgpr6
; %bb.11:
	s_wait_alu 0xfffe
	s_or_saveexec_b32 s1, s0
	s_load_b64 s[2:3], s[2:3], 0x0
	v_dual_mov_b32 v8, s14 :: v_dual_mov_b32 v57, s14
                                        ; implicit-def: $vgpr58
                                        ; implicit-def: $vgpr59
                                        ; implicit-def: $vgpr73
                                        ; implicit-def: $vgpr9
                                        ; implicit-def: $vgpr74
                                        ; implicit-def: $vgpr10
                                        ; implicit-def: $vgpr72
                                        ; implicit-def: $vgpr11
                                        ; implicit-def: $vgpr71
                                        ; implicit-def: $vgpr12
                                        ; implicit-def: $vgpr70
                                        ; implicit-def: $vgpr13
                                        ; implicit-def: $vgpr68
                                        ; implicit-def: $vgpr14
                                        ; implicit-def: $vgpr67
                                        ; implicit-def: $vgpr15
                                        ; implicit-def: $vgpr66
                                        ; implicit-def: $vgpr31
                                        ; implicit-def: $vgpr65
                                        ; implicit-def: $vgpr33
                                        ; implicit-def: $vgpr64
                                        ; implicit-def: $vgpr34
                                        ; implicit-def: $vgpr63
                                        ; implicit-def: $vgpr35
                                        ; implicit-def: $vgpr62
                                        ; implicit-def: $vgpr36
                                        ; implicit-def: $vgpr61
                                        ; implicit-def: $vgpr38
                                        ; implicit-def: $vgpr60
                                        ; implicit-def: $vgpr41
                                        ; implicit-def: $vgpr56
                                        ; implicit-def: $vgpr22
                                        ; implicit-def: $vgpr54
                                        ; implicit-def: $vgpr21
                                        ; implicit-def: $vgpr53
                                        ; implicit-def: $vgpr20
                                        ; implicit-def: $vgpr51
                                        ; implicit-def: $vgpr19
                                        ; implicit-def: $vgpr48
                                        ; implicit-def: $vgpr18
                                        ; implicit-def: $vgpr43
                                        ; implicit-def: $vgpr17
                                        ; implicit-def: $vgpr37
                                        ; implicit-def: $vgpr16
                                        ; implicit-def: $vgpr32
                                        ; implicit-def: $vgpr39
                                        ; implicit-def: $vgpr30
                                        ; implicit-def: $vgpr40
                                        ; implicit-def: $vgpr29
                                        ; implicit-def: $vgpr42
                                        ; implicit-def: $vgpr23
                                        ; implicit-def: $vgpr55
                                        ; implicit-def: $vgpr24
                                        ; implicit-def: $vgpr52
                                        ; implicit-def: $vgpr25
                                        ; implicit-def: $vgpr50
                                        ; implicit-def: $vgpr26
                                        ; implicit-def: $vgpr49
                                        ; implicit-def: $vgpr27
                                        ; implicit-def: $vgpr45
                                        ; implicit-def: $vgpr28
                                        ; implicit-def: $vgpr44
                                        ; implicit-def: $vgpr69
                                        ; implicit-def: $vgpr47
                                        ; implicit-def: $vgpr75
                                        ; implicit-def: $vgpr46
	s_xor_b32 exec_lo, exec_lo, s1
	s_cbranch_execz .LBB0_15
; %bb.12:
	s_add_nc_u64 s[10:11], s[12:13], s[10:11]
	v_mul_u32_u24_e32 v7, 51, v76
	s_load_b64 s[10:11], s[10:11], 0x0
	v_lshlrev_b64_e32 v[5:6], 2, v[5:6]
                                        ; implicit-def: $vgpr44
                                        ; implicit-def: $vgpr45
                                        ; implicit-def: $vgpr49
                                        ; implicit-def: $vgpr50
                                        ; implicit-def: $vgpr52
                                        ; implicit-def: $vgpr55
                                        ; implicit-def: $vgpr42
                                        ; implicit-def: $vgpr43
                                        ; implicit-def: $vgpr48
                                        ; implicit-def: $vgpr51
                                        ; implicit-def: $vgpr53
                                        ; implicit-def: $vgpr54
                                        ; implicit-def: $vgpr56
	v_mov_b32_e32 v57, 0
	s_delay_alu instid0(VALU_DEP_3) | instskip(NEXT) | instid1(VALU_DEP_1)
	v_sub_nc_u32_e32 v7, v0, v7
	v_mad_co_u64_u32 v[8:9], null, s18, v7, 0
	v_add_nc_u32_e32 v19, 0x63, v7
	v_add_nc_u32_e32 v22, 0xc6, v7
	;; [unrolled: 1-line block ×4, first 2 shown]
	v_mov_b32_e32 v0, v9
	v_mad_co_u64_u32 v[10:11], null, s18, v19, 0
	s_wait_kmcnt 0x0
	v_mul_lo_u32 v9, s11, v3
	v_mul_lo_u32 v20, s10, v4
	v_mad_co_u64_u32 v[14:15], null, s10, v3, 0
	v_mad_co_u64_u32 v[12:13], null, s18, v22, 0
	v_add_nc_u32_e32 v23, 0x129, v7
	v_mad_co_u64_u32 v[16:17], null, s19, v7, v[0:1]
	v_mov_b32_e32 v0, v11
	v_add3_u32 v15, v15, v20, v9
	s_delay_alu instid0(VALU_DEP_4) | instskip(SKIP_2) | instid1(VALU_DEP_4)
	v_mad_co_u64_u32 v[17:18], null, s18, v23, 0
	v_dual_mov_b32 v11, v13 :: v_dual_add_nc_u32 v24, 0x18c, v7
	v_mov_b32_e32 v9, v16
	v_lshlrev_b64_e32 v[13:14], 2, v[14:15]
	v_mad_co_u64_u32 v[19:20], null, s19, v19, v[0:1]
	s_delay_alu instid0(VALU_DEP_4) | instskip(SKIP_1) | instid1(VALU_DEP_4)
	v_mad_co_u64_u32 v[15:16], null, s19, v22, v[11:12]
	v_mov_b32_e32 v16, v18
	v_add_co_u32 v0, s0, s4, v13
	s_wait_alu 0xf1ff
	v_add_co_ci_u32_e64 v14, s0, s5, v14, s0
	v_mov_b32_e32 v11, v19
	s_delay_alu instid0(VALU_DEP_3)
	v_add_co_u32 v0, s0, v0, v5
	v_mad_co_u64_u32 v[20:21], null, s18, v24, 0
	v_mov_b32_e32 v13, v15
	s_wait_alu 0xf1ff
	v_add_co_ci_u32_e64 v5, s0, v14, v6, s0
	v_mad_co_u64_u32 v[14:15], null, s19, v23, v[16:17]
	s_delay_alu instid0(VALU_DEP_4)
	v_dual_mov_b32 v6, v21 :: v_dual_add_nc_u32 v23, 0x1ef, v7
	v_lshlrev_b64_e32 v[8:9], 2, v[8:9]
	v_lshlrev_b64_e32 v[10:11], 2, v[10:11]
	;; [unrolled: 1-line block ×3, first 2 shown]
	v_mov_b32_e32 v18, v14
	v_mad_co_u64_u32 v[14:15], null, s18, v23, 0
	v_add_nc_u32_e32 v25, 0x252, v7
	v_mad_co_u64_u32 v[21:22], null, s19, v24, v[6:7]
	s_delay_alu instid0(VALU_DEP_4)
	v_lshlrev_b64_e32 v[16:17], 2, v[17:18]
	v_add_co_u32 v8, s0, v0, v8
	v_mov_b32_e32 v6, v15
	v_mad_co_u64_u32 v[18:19], null, s18, v25, 0
	v_add_nc_u32_e32 v27, 0x2b5, v7
	s_wait_alu 0xf1ff
	v_add_co_ci_u32_e64 v9, s0, v5, v9, s0
	v_mad_co_u64_u32 v[22:23], null, s19, v23, v[6:7]
	v_add_co_u32 v10, s0, v0, v10
	v_mov_b32_e32 v6, v19
	v_mad_co_u64_u32 v[23:24], null, s18, v27, 0
	s_wait_alu 0xf1ff
	v_add_co_ci_u32_e64 v11, s0, v5, v11, s0
	s_delay_alu instid0(VALU_DEP_3)
	v_mad_co_u64_u32 v[25:26], null, s19, v25, v[6:7]
	v_mov_b32_e32 v15, v22
	v_add_co_u32 v12, s0, v0, v12
	v_mov_b32_e32 v6, v24
	v_lshlrev_b64_e32 v[20:21], 2, v[20:21]
	s_wait_alu 0xf1ff
	v_add_co_ci_u32_e64 v13, s0, v5, v13, s0
	v_mov_b32_e32 v19, v25
	v_mad_co_u64_u32 v[24:25], null, s19, v27, v[6:7]
	v_mad_co_u64_u32 v[25:26], null, s18, v29, 0
	v_add_co_u32 v16, s0, v0, v16
	v_lshlrev_b64_e32 v[14:15], 2, v[14:15]
	s_wait_alu 0xf1ff
	v_add_co_ci_u32_e64 v17, s0, v5, v17, s0
	v_lshlrev_b64_e32 v[22:23], 2, v[23:24]
	v_mov_b32_e32 v6, v26
	v_add_nc_u32_e32 v24, 0x3de, v7
	v_add_co_u32 v20, s0, v0, v20
	s_wait_alu 0xf1ff
	v_add_co_ci_u32_e64 v21, s0, v5, v21, s0
	v_mad_co_u64_u32 v[29:30], null, s19, v29, v[6:7]
	v_add_nc_u32_e32 v31, 0x37b, v7
	v_add_co_u32 v14, s0, v0, v14
	s_wait_alu 0xf1ff
	v_add_co_ci_u32_e64 v15, s0, v5, v15, s0
	s_delay_alu instid0(VALU_DEP_4) | instskip(SKIP_1) | instid1(VALU_DEP_1)
	v_mov_b32_e32 v26, v29
	v_mad_co_u64_u32 v[27:28], null, s18, v31, 0
	v_mov_b32_e32 v6, v28
	v_lshlrev_b64_e32 v[18:19], 2, v[18:19]
	s_delay_alu instid0(VALU_DEP_2) | instskip(SKIP_1) | instid1(VALU_DEP_3)
	v_mad_co_u64_u32 v[28:29], null, s19, v31, v[6:7]
	v_mad_co_u64_u32 v[29:30], null, s18, v24, 0
	v_add_co_u32 v18, s0, v0, v18
	v_add_nc_u32_e32 v31, 0x441, v7
	s_wait_alu 0xf1ff
	v_add_co_ci_u32_e64 v19, s0, v5, v19, s0
	v_add_co_u32 v22, s0, v0, v22
	v_mov_b32_e32 v6, v30
	s_wait_alu 0xf1ff
	v_add_co_ci_u32_e64 v23, s0, v5, v23, s0
	s_clause 0x7
	global_load_b32 v59, v[8:9], off
	global_load_b32 v9, v[10:11], off
	global_load_b32 v10, v[12:13], off
	global_load_b32 v11, v[16:17], off
	global_load_b32 v12, v[20:21], off
	global_load_b32 v13, v[14:15], off
	global_load_b32 v14, v[18:19], off
	global_load_b32 v15, v[22:23], off
	v_mad_co_u64_u32 v[18:19], null, s18, v31, 0
	v_lshlrev_b64_e32 v[16:17], 2, v[25:26]
	v_mad_co_u64_u32 v[20:21], null, s19, v24, v[6:7]
	v_add_nc_u32_e32 v8, 0x4a4, v7
	v_lshlrev_b64_e32 v[21:22], 2, v[27:28]
	v_mov_b32_e32 v6, v19
	v_add_co_u32 v16, s0, v0, v16
	s_delay_alu instid0(VALU_DEP_4)
	v_mad_co_u64_u32 v[23:24], null, s18, v8, 0
	s_wait_alu 0xf1ff
	v_add_co_ci_u32_e64 v17, s0, v5, v17, s0
	v_mov_b32_e32 v30, v20
	v_mad_co_u64_u32 v[19:20], null, s19, v31, v[6:7]
	v_add_co_u32 v20, s0, v0, v21
	s_wait_alu 0xf1ff
	v_add_co_ci_u32_e64 v21, s0, v5, v22, s0
	v_add_nc_u32_e32 v22, 0x507, v7
	v_mov_b32_e32 v6, v24
	v_lshlrev_b64_e32 v[25:26], 2, v[29:30]
	v_lshlrev_b64_e32 v[18:19], 2, v[18:19]
	s_delay_alu instid0(VALU_DEP_4) | instskip(NEXT) | instid1(VALU_DEP_4)
	v_mad_co_u64_u32 v[27:28], null, s18, v22, 0
	v_mad_co_u64_u32 v[29:30], null, s19, v8, v[6:7]
	;; [unrolled: 1-line block ×3, first 2 shown]
	v_add_nc_u32_e32 v8, 0x5cd, v7
	v_add_co_u32 v25, s0, v0, v25
	v_mov_b32_e32 v6, v28
	v_mov_b32_e32 v24, v29
	s_delay_alu instid0(VALU_DEP_4)
	v_mad_co_u64_u32 v[32:33], null, s18, v8, 0
	s_wait_alu 0xf1ff
	v_add_co_ci_u32_e64 v26, s0, v5, v26, s0
	v_mad_co_u64_u32 v[28:29], null, s19, v22, v[6:7]
	v_dual_mov_b32 v6, v31 :: v_dual_add_nc_u32 v29, 0x630, v7
	v_lshlrev_b64_e32 v[22:23], 2, v[23:24]
	v_add_co_u32 v18, s0, v0, v18
	s_wait_alu 0xf1ff
	v_add_co_ci_u32_e64 v19, s0, v5, v19, s0
	v_mad_co_u64_u32 v[34:35], null, s19, v34, v[6:7]
	v_mad_co_u64_u32 v[35:36], null, s18, v29, 0
	v_mov_b32_e32 v6, v33
	v_lshlrev_b64_e32 v[27:28], 2, v[27:28]
	v_add_co_u32 v22, s0, v0, v22
	v_mov_b32_e32 v31, v34
	s_delay_alu instid0(VALU_DEP_4) | instskip(SKIP_4) | instid1(VALU_DEP_3)
	v_mad_co_u64_u32 v[33:34], null, s19, v8, v[6:7]
	v_mov_b32_e32 v6, v36
	s_wait_alu 0xf1ff
	v_add_co_ci_u32_e64 v23, s0, v5, v23, s0
	v_add_co_u32 v27, s0, v0, v27
	v_mad_co_u64_u32 v[36:37], null, s19, v29, v[6:7]
	v_lshlrev_b64_e32 v[29:30], 2, v[30:31]
	v_lshlrev_b64_e32 v[31:32], 2, v[32:33]
	s_wait_alu 0xf1ff
	v_add_co_ci_u32_e64 v28, s0, v5, v28, s0
	v_mov_b32_e32 v8, 0
                                        ; implicit-def: $vgpr24
	s_delay_alu instid0(VALU_DEP_4)
	v_add_co_u32 v29, s0, v0, v29
	v_lshlrev_b64_e32 v[33:34], 2, v[35:36]
	s_wait_alu 0xf1ff
	v_add_co_ci_u32_e64 v30, s0, v5, v30, s0
	v_add_co_u32 v37, s0, v0, v31
	s_wait_alu 0xf1ff
	v_add_co_ci_u32_e64 v38, s0, v5, v32, s0
	v_add_co_u32 v39, s0, v0, v33
	s_wait_alu 0xf1ff
	v_add_co_ci_u32_e64 v40, s0, v5, v34, s0
	s_clause 0x8
	global_load_b32 v31, v[16:17], off
	global_load_b32 v46, v[20:21], off
	;; [unrolled: 1-line block ×9, first 2 shown]
	v_cmp_gt_u32_e64 s0, 48, v7
                                        ; implicit-def: $vgpr28
                                        ; implicit-def: $vgpr27
                                        ; implicit-def: $vgpr26
                                        ; implicit-def: $vgpr25
                                        ; implicit-def: $vgpr23
                                        ; implicit-def: $vgpr29
                                        ; implicit-def: $vgpr40
                                        ; implicit-def: $vgpr30
                                        ; implicit-def: $vgpr39
                                        ; implicit-def: $vgpr32
                                        ; implicit-def: $vgpr16
                                        ; implicit-def: $vgpr37
                                        ; implicit-def: $vgpr17
                                        ; implicit-def: $vgpr18
                                        ; implicit-def: $vgpr19
                                        ; implicit-def: $vgpr20
                                        ; implicit-def: $vgpr21
                                        ; implicit-def: $vgpr22
	s_delay_alu instid0(VALU_DEP_1)
	s_and_saveexec_b32 s4, s0
	s_cbranch_execz .LBB0_14
; %bb.13:
	v_add_nc_u32_e32 v25, 0x96, v7
	v_add_nc_u32_e32 v32, 0x222, v7
	;; [unrolled: 1-line block ×3, first 2 shown]
	s_delay_alu instid0(VALU_DEP_3) | instskip(NEXT) | instid1(VALU_DEP_1)
	v_mad_co_u64_u32 v[18:19], null, s18, v25, 0
	v_dual_mov_b32 v8, v19 :: v_dual_add_nc_u32 v27, 0xf9, v7
	s_delay_alu instid0(VALU_DEP_1) | instskip(SKIP_2) | instid1(VALU_DEP_3)
	v_mad_co_u64_u32 v[20:21], null, s18, v27, 0
	v_add_nc_u32_e32 v29, 0x15c, v7
	s_wait_loadcnt 0xf
	v_mad_co_u64_u32 v[25:26], null, s19, v25, v[8:9]
	s_delay_alu instid0(VALU_DEP_1) | instskip(NEXT) | instid1(VALU_DEP_1)
	v_dual_mov_b32 v19, v25 :: v_dual_add_nc_u32 v22, 51, v7
	v_mad_co_u64_u32 v[16:17], null, s18, v22, 0
	s_delay_alu instid0(VALU_DEP_2) | instskip(NEXT) | instid1(VALU_DEP_2)
	v_lshlrev_b64_e32 v[18:19], 2, v[18:19]
	v_mov_b32_e32 v6, v17
	s_delay_alu instid0(VALU_DEP_1) | instskip(SKIP_3) | instid1(VALU_DEP_3)
	v_mad_co_u64_u32 v[22:23], null, s19, v22, v[6:7]
	v_mov_b32_e32 v6, v21
	v_mad_co_u64_u32 v[23:24], null, s18, v29, 0
	v_add_nc_u32_e32 v8, 0x1bf, v7
	v_mad_co_u64_u32 v[26:27], null, s19, v27, v[6:7]
	v_mov_b32_e32 v17, v22
	s_delay_alu instid0(VALU_DEP_3) | instskip(SKIP_1) | instid1(VALU_DEP_3)
	v_mad_co_u64_u32 v[27:28], null, s18, v8, 0
	v_mov_b32_e32 v6, v24
	v_lshlrev_b64_e32 v[16:17], 2, v[16:17]
	v_mov_b32_e32 v21, v26
	s_delay_alu instid0(VALU_DEP_3) | instskip(SKIP_4) | instid1(VALU_DEP_4)
	v_mad_co_u64_u32 v[24:25], null, s19, v29, v[6:7]
	v_mov_b32_e32 v6, v28
	v_mad_co_u64_u32 v[25:26], null, s18, v32, 0
	v_add_co_u32 v16, s0, v0, v16
	v_lshlrev_b64_e32 v[20:21], 2, v[20:21]
	v_mad_co_u64_u32 v[28:29], null, s19, v8, v[6:7]
	v_add_nc_u32_e32 v8, 0x285, v7
	s_wait_alu 0xf1ff
	v_add_co_ci_u32_e64 v17, s0, v5, v17, s0
	v_add_co_u32 v18, s0, v0, v18
	v_lshlrev_b64_e32 v[22:23], 2, v[23:24]
	s_wait_alu 0xf1ff
	v_add_co_ci_u32_e64 v19, s0, v5, v19, s0
	v_add_co_u32 v20, s0, v0, v20
	v_mov_b32_e32 v6, v26
	v_mad_co_u64_u32 v[29:30], null, s18, v8, 0
	v_add_nc_u32_e32 v24, 0x2e8, v7
	s_wait_alu 0xf1ff
	v_add_co_ci_u32_e64 v21, s0, v5, v21, s0
	v_add_co_u32 v42, s0, v0, v22
	v_mad_co_u64_u32 v[39:40], null, s19, v32, v[6:7]
	s_wait_alu 0xf1ff
	v_add_co_ci_u32_e64 v43, s0, v5, v23, s0
	v_lshlrev_b64_e32 v[22:23], 2, v[27:28]
	v_mad_co_u64_u32 v[27:28], null, s18, v24, 0
	v_mov_b32_e32 v6, v30
	v_mov_b32_e32 v26, v39
	v_add_nc_u32_e32 v32, 0x3ae, v7
	v_add_co_u32 v44, s0, v0, v22
	s_delay_alu instid0(VALU_DEP_4)
	v_mad_co_u64_u32 v[39:40], null, s19, v8, v[6:7]
	v_mov_b32_e32 v6, v28
	v_add_nc_u32_e32 v8, 0x34b, v7
	s_wait_alu 0xf1ff
	v_add_co_ci_u32_e64 v45, s0, v5, v23, s0
	v_lshlrev_b64_e32 v[22:23], 2, v[25:26]
	v_mad_co_u64_u32 v[24:25], null, s19, v24, v[6:7]
	v_mad_co_u64_u32 v[25:26], null, s18, v8, 0
	v_mov_b32_e32 v30, v39
	s_delay_alu instid0(VALU_DEP_4)
	v_add_co_u32 v39, s0, v0, v22
	s_wait_alu 0xf1ff
	v_add_co_ci_u32_e64 v40, s0, v5, v23, s0
	v_mov_b32_e32 v28, v24
	v_lshlrev_b64_e32 v[22:23], 2, v[29:30]
	v_mov_b32_e32 v6, v26
	v_mad_co_u64_u32 v[29:30], null, s18, v32, 0
	s_delay_alu instid0(VALU_DEP_4) | instskip(NEXT) | instid1(VALU_DEP_3)
	v_lshlrev_b64_e32 v[26:27], 2, v[27:28]
	v_mad_co_u64_u32 v[48:49], null, s19, v8, v[6:7]
	v_add_nc_u32_e32 v8, 0x411, v7
	v_add_co_u32 v49, s0, v0, v22
	v_mov_b32_e32 v6, v30
	s_wait_alu 0xf1ff
	v_add_co_ci_u32_e64 v50, s0, v5, v23, s0
	v_mad_co_u64_u32 v[51:52], null, s18, v8, 0
	v_add_co_u32 v23, s0, v0, v26
	s_wait_alu 0xf1ff
	v_add_co_ci_u32_e64 v24, s0, v5, v27, s0
	v_mov_b32_e32 v26, v48
	v_mad_co_u64_u32 v[27:28], null, s19, v32, v[6:7]
	v_add_nc_u32_e32 v32, 0x474, v7
	s_clause 0x7
	global_load_b32 v57, v[16:17], off
	global_load_b32 v22, v[18:19], off
	;; [unrolled: 1-line block ×8, first 2 shown]
	v_lshlrev_b64_e32 v[23:24], 2, v[25:26]
	v_mov_b32_e32 v6, v52
	v_mad_co_u64_u32 v[48:49], null, s18, v37, 0
	v_mad_co_u64_u32 v[25:26], null, s18, v32, 0
	v_mov_b32_e32 v30, v27
	s_delay_alu instid0(VALU_DEP_4) | instskip(SKIP_4) | instid1(VALU_DEP_4)
	v_mad_co_u64_u32 v[27:28], null, s19, v8, v[6:7]
	v_add_nc_u32_e32 v8, 0x4d7, v7
	v_add_co_u32 v23, s0, v0, v23
	v_mov_b32_e32 v6, v26
	v_lshlrev_b64_e32 v[28:29], 2, v[29:30]
	v_mad_co_u64_u32 v[39:40], null, s18, v8, 0
	v_mov_b32_e32 v52, v27
	s_delay_alu instid0(VALU_DEP_4)
	v_mad_co_u64_u32 v[26:27], null, s19, v32, v[6:7]
	v_add_nc_u32_e32 v32, 0x53a, v7
	s_wait_alu 0xf1ff
	v_add_co_ci_u32_e64 v24, s0, v5, v24, s0
	v_mov_b32_e32 v6, v40
	v_add_co_u32 v27, s0, v0, v28
	v_mad_co_u64_u32 v[42:43], null, s18, v32, 0
	s_delay_alu instid0(VALU_DEP_3)
	v_mad_co_u64_u32 v[44:45], null, s19, v8, v[6:7]
	v_or_b32_e32 v8, 0x600, v7
	s_wait_alu 0xf1ff
	v_add_co_ci_u32_e64 v28, s0, v5, v29, s0
	v_lshlrev_b64_e32 v[29:30], 2, v[51:52]
	v_mov_b32_e32 v6, v43
	v_lshlrev_b64_e32 v[25:26], 2, v[25:26]
	v_mov_b32_e32 v40, v44
	s_delay_alu instid0(VALU_DEP_3) | instskip(SKIP_4) | instid1(VALU_DEP_4)
	v_mad_co_u64_u32 v[43:44], null, s19, v32, v[6:7]
	v_mov_b32_e32 v6, v49
	v_add_nc_u32_e32 v32, 0x663, v7
	v_mad_co_u64_u32 v[44:45], null, s18, v8, 0
	v_add_co_u32 v29, s0, v0, v29
	v_mad_co_u64_u32 v[49:50], null, s19, v37, v[6:7]
	s_delay_alu instid0(VALU_DEP_4) | instskip(NEXT) | instid1(VALU_DEP_4)
	v_mad_co_u64_u32 v[50:51], null, s18, v32, 0
	v_mov_b32_e32 v6, v45
	v_lshlrev_b64_e32 v[39:40], 2, v[39:40]
	s_wait_alu 0xf1ff
	v_add_co_ci_u32_e64 v30, s0, v5, v30, s0
	v_add_co_u32 v25, s0, v0, v25
	v_mad_co_u64_u32 v[52:53], null, s19, v8, v[6:7]
	v_mov_b32_e32 v6, v51
	s_wait_alu 0xf1ff
	v_add_co_ci_u32_e64 v26, s0, v5, v26, s0
	v_add_co_u32 v53, s0, v0, v39
	s_wait_alu 0xf1ff
	v_add_co_ci_u32_e64 v54, s0, v5, v40, s0
	v_lshlrev_b64_e32 v[39:40], 2, v[42:43]
	v_mad_co_u64_u32 v[42:43], null, s19, v32, v[6:7]
	v_mov_b32_e32 v45, v52
	v_lshlrev_b64_e32 v[48:49], 2, v[48:49]
	s_delay_alu instid0(VALU_DEP_4)
	v_add_co_u32 v55, s0, v0, v39
	s_wait_alu 0xf1ff
	v_add_co_ci_u32_e64 v56, s0, v5, v40, s0
	v_mov_b32_e32 v51, v42
	v_lshlrev_b64_e32 v[39:40], 2, v[44:45]
	v_add_co_u32 v60, s0, v0, v48
	s_wait_alu 0xf1ff
	v_add_co_ci_u32_e64 v61, s0, v5, v49, s0
	v_lshlrev_b64_e32 v[42:43], 2, v[50:51]
	s_delay_alu instid0(VALU_DEP_4) | instskip(SKIP_2) | instid1(VALU_DEP_3)
	v_add_co_u32 v51, s0, v0, v39
	s_wait_alu 0xf1ff
	v_add_co_ci_u32_e64 v52, s0, v5, v40, s0
	v_add_co_u32 v62, s0, v0, v42
	s_wait_alu 0xf1ff
	v_add_co_ci_u32_e64 v63, s0, v5, v43, s0
	s_clause 0x8
	global_load_b32 v39, v[23:24], off
	global_load_b32 v40, v[27:28], off
	;; [unrolled: 1-line block ×9, first 2 shown]
	s_wait_loadcnt 0x10
	v_lshrrev_b32_e32 v8, 16, v57
	s_wait_loadcnt 0xf
	v_lshrrev_b32_e32 v56, 16, v22
	;; [unrolled: 2-line block ×17, first 2 shown]
.LBB0_14:
	s_wait_alu 0xfffe
	s_or_b32 exec_lo, exec_lo, s4
	s_wait_loadcnt 0x10
	v_lshrrev_b32_e32 v58, 16, v59
	s_wait_loadcnt 0xf
	v_lshrrev_b32_e32 v73, 16, v9
	s_wait_loadcnt 0xe
	v_lshrrev_b32_e32 v74, 16, v10
	s_wait_loadcnt 0xd
	v_lshrrev_b32_e32 v72, 16, v11
	s_wait_loadcnt 0xc
	v_lshrrev_b32_e32 v71, 16, v12
	s_wait_loadcnt 0xb
	v_lshrrev_b32_e32 v70, 16, v13
	s_wait_loadcnt 0xa
	v_lshrrev_b32_e32 v68, 16, v14
	s_wait_loadcnt 0x9
	v_lshrrev_b32_e32 v67, 16, v15
	s_wait_loadcnt 0x8
	v_lshrrev_b32_e32 v66, 16, v31
	s_wait_loadcnt 0x7
	v_lshrrev_b32_e32 v75, 16, v46
	s_wait_loadcnt 0x6
	v_lshrrev_b32_e32 v69, 16, v47
	s_wait_loadcnt 0x5
	v_lshrrev_b32_e32 v65, 16, v33
	s_wait_loadcnt 0x4
	v_lshrrev_b32_e32 v64, 16, v34
	s_wait_loadcnt 0x3
	v_lshrrev_b32_e32 v63, 16, v35
	s_wait_loadcnt 0x2
	v_lshrrev_b32_e32 v62, 16, v36
	s_wait_loadcnt 0x1
	v_lshrrev_b32_e32 v61, 16, v38
	s_wait_loadcnt 0x0
	v_lshrrev_b32_e32 v60, 16, v41
.LBB0_15:
	s_or_b32 exec_lo, exec_lo, s1
	s_delay_alu instid0(VALU_DEP_1)
	v_sub_f16_e32 v77, v73, v60
	v_add_f16_e32 v5, v9, v41
	v_sub_f16_e32 v78, v74, v61
	v_add_f16_e32 v79, v10, v38
	v_sub_f16_e32 v81, v72, v62
	v_pk_mul_f16 v92, 0xb964b5c8, v77 op_sel_hi:[1,0]
	v_add_f16_e32 v80, v11, v36
	v_pk_mul_f16 v93, 0xbbf7b964, v78 op_sel_hi:[1,0]
	v_sub_f16_e32 v83, v71, v63
	v_pk_mul_f16 v94, 0xba62bb29, v81 op_sel_hi:[1,0]
	v_pk_fma_f16 v76, 0x39e93b76, v5, v92 op_sel_hi:[1,0,1]
	v_pk_mul_f16 v99, 0xbbf7bb29, v77 op_sel_hi:[1,0]
	v_pk_fma_f16 v108, 0x2de839e9, v79, v93 op_sel_hi:[1,0,1]
	v_add_f16_e32 v82, v12, v35
	v_sub_f16_e32 v85, v70, v64
	v_pk_add_f16 v76, v76, v59 op_sel_hi:[1,0]
	v_pk_mul_f16 v95, 0xb1e1bbf7, v83 op_sel_hi:[1,0]
	v_pk_mul_f16 v100, 0xb1e1ba62, v78 op_sel_hi:[1,0]
	v_pk_fma_f16 v109, 0xb8d23722, v80, v94 op_sel_hi:[1,0,1]
	v_pk_fma_f16 v111, 0x2de83722, v5, v99 op_sel_hi:[1,0,1]
	v_pk_add_f16 v76, v108, v76
	v_add_f16_e32 v84, v13, v34
	v_sub_f16_e32 v87, v68, v65
	v_pk_mul_f16 v96, 0x3836bbb2, v85 op_sel_hi:[1,0]
	v_pk_mul_f16 v101, 0x3bb231e1, v81 op_sel_hi:[1,0]
	v_pk_fma_f16 v110, 0xbbdd2de8, v82, v95 op_sel_hi:[1,0,1]
	v_pk_fma_f16 v112, 0xbbddb8d2, v79, v100 op_sel_hi:[1,0,1]
	v_pk_add_f16 v111, v111, v59 op_sel_hi:[1,0]
	v_pk_add_f16 v76, v109, v76
	v_add_f16_e32 v86, v14, v33
	v_sub_f16_e32 v89, v67, v69
	v_pk_mul_f16 v97, 0x3bb2ba62, v87 op_sel_hi:[1,0]
	v_pk_mul_f16 v102, 0x35c83bb2, v83 op_sel_hi:[1,0]
	v_pk_fma_f16 v108, 0xbacdb461, v84, v96 op_sel_hi:[1,0,1]
	v_pk_fma_f16 v113, 0xb461bbdd, v80, v101 op_sel_hi:[1,0,1]
	v_pk_add_f16 v111, v112, v111
	v_pk_add_f16 v76, v110, v76
	v_add_f16_e32 v88, v47, v15
	v_pk_mul_f16 v98, 0x3b29b836, v89 op_sel_hi:[1,0]
	v_pk_mul_f16 v103, 0xbb293964, v85 op_sel_hi:[1,0]
	;; [unrolled: 1-line block ×3, first 2 shown]
	v_pk_fma_f16 v109, 0xb461b8d2, v86, v97 op_sel_hi:[1,0,1]
	v_pk_fma_f16 v112, 0x3b76b461, v82, v102 op_sel_hi:[1,0,1]
	v_pk_add_f16 v111, v113, v111
	v_pk_add_f16 v76, v108, v76
	v_pk_mul_f16 v104, 0xb836b5c8, v87 op_sel_hi:[1,0]
	v_pk_mul_f16 v107, 0x3bb23836, v78 op_sel_hi:[1,0]
	v_pk_fma_f16 v110, 0x3722bacd, v88, v98 op_sel_hi:[1,0,1]
	v_pk_fma_f16 v108, 0x372239e9, v84, v103 op_sel_hi:[1,0,1]
	;; [unrolled: 1-line block ×3, first 2 shown]
	v_pk_add_f16 v111, v112, v111
	v_pk_add_f16 v76, v109, v76
	v_sub_f16_e32 v91, v66, v75
	v_pk_mul_f16 v105, 0x3a62bbf7, v89 op_sel_hi:[1,0]
	v_pk_fma_f16 v109, 0xbacd3b76, v86, v104 op_sel_hi:[1,0,1]
	v_pk_add_f16 v112, v113, v59 op_sel_hi:[1,0]
	v_pk_add_f16 v108, v108, v111
	v_pk_add_f16 v76, v76, v110
	v_pk_fma_f16 v110, 0xb461bacd, v79, v107 op_sel_hi:[1,0,1]
	v_pk_mul_f16 v111, 0xb5c83964, v81 op_sel_hi:[1,0]
	v_add_f16_e32 v90, v46, v31
	v_pk_mul_f16 v113, 0x35c8b1e1, v91 op_sel_hi:[1,0]
	v_pk_add_f16 v108, v109, v108
	v_pk_fma_f16 v109, 0xb8d22de8, v88, v105 op_sel_hi:[1,0,1]
	v_pk_add_f16 v110, v110, v112
	v_pk_fma_f16 v112, 0x3b7639e9, v80, v111 op_sel_hi:[1,0,1]
	v_pk_mul_f16 v114, 0xb836bb29, v83 op_sel_hi:[1,0]
	v_pk_fma_f16 v115, 0x3b76bbdd, v90, v113 op_sel_hi:[1,0,1]
	v_pk_mul_f16 v116, 0x3964b836, v91 op_sel_hi:[1,0]
	v_pk_add_f16 v108, v108, v109
	v_pk_add_f16 v109, v112, v110
	v_pk_fma_f16 v110, 0xbacd3722, v82, v114 op_sel_hi:[1,0,1]
	v_pk_mul_f16 v112, 0x3bf7b1e1, v85 op_sel_hi:[1,0]
	v_pk_fma_f16 v117, 0x39e9bacd, v90, v116 op_sel_hi:[1,0,1]
	v_pk_add_f16 v76, v76, v115
	v_pk_mul_f16 v115, 0xb1e1b836, v77 op_sel_hi:[1,0]
	v_pk_add_f16 v109, v110, v109
	v_pk_fma_f16 v110, 0x2de8bbdd, v84, v112 op_sel_hi:[1,0,1]
	v_pk_add_f16 v77, v108, v117
	v_pk_mul_f16 v108, 0xb9643bf7, v87 op_sel_hi:[1,0]
	v_pk_fma_f16 v117, 0xbbddbacd, v5, v115 op_sel_hi:[1,0,1]
	v_pk_mul_f16 v78, 0x35c83b29, v78 op_sel_hi:[1,0]
	v_pk_add_f16 v109, v110, v109
	v_pk_fma_f16 v110, 0xbbddbacd, v5, v115 op_sel_hi:[1,0,1] neg_lo:[0,0,1] neg_hi:[0,0,1]
	v_add_f16_e32 v0, v59, v9
	v_pk_fma_f16 v115, 0x39e92de8, v86, v108 op_sel_hi:[1,0,1]
	v_pk_add_f16 v117, v117, v59 op_sel_hi:[1,0]
	v_pk_fma_f16 v118, 0x3b763722, v79, v78 op_sel_hi:[1,0,1]
	v_pk_mul_f16 v81, 0xb836bbf7, v81 op_sel_hi:[1,0]
	v_pk_add_f16 v110, v110, v59 op_sel_hi:[1,0]
	v_pk_fma_f16 v78, 0x3b763722, v79, v78 op_sel_hi:[1,0,1] neg_lo:[0,0,1] neg_hi:[0,0,1]
	v_add_f16_e32 v0, v0, v10
	v_pk_add_f16 v109, v115, v109
	v_pk_add_f16 v115, v118, v117
	v_pk_fma_f16 v117, 0xbacd2de8, v80, v81 op_sel_hi:[1,0,1]
	v_pk_mul_f16 v83, 0x39643a62, v83 op_sel_hi:[1,0]
	v_pk_add_f16 v78, v78, v110
	v_pk_fma_f16 v81, 0xbacd2de8, v80, v81 op_sel_hi:[1,0,1] neg_lo:[0,0,1] neg_hi:[0,0,1]
	v_add_f16_e32 v0, v0, v11
	v_pk_add_f16 v115, v117, v115
	v_pk_fma_f16 v117, 0x39e9b8d2, v82, v83 op_sel_hi:[1,0,1]
	v_pk_mul_f16 v85, 0xba62b5c8, v85 op_sel_hi:[1,0]
	v_pk_add_f16 v78, v81, v78
	v_pk_fma_f16 v81, 0x39e9b8d2, v82, v83 op_sel_hi:[1,0,1] neg_lo:[0,0,1] neg_hi:[0,0,1]
	v_add_f16_e32 v0, v0, v12
	v_pk_mul_f16 v110, 0xb1e1b5c8, v89 op_sel_hi:[1,0]
	v_pk_add_f16 v115, v117, v115
	v_pk_fma_f16 v117, 0xb8d23b76, v84, v85 op_sel_hi:[1,0,1]
	v_pk_mul_f16 v87, 0x3b29b1e1, v87 op_sel_hi:[1,0]
	v_pk_add_f16 v78, v81, v78
	v_pk_fma_f16 v81, 0xb8d23b76, v84, v85 op_sel_hi:[1,0,1] neg_lo:[0,0,1] neg_hi:[0,0,1]
	v_add_f16_e32 v0, v0, v13
	v_pk_fma_f16 v83, 0xbbdd3b76, v88, v110 op_sel_hi:[1,0,1]
	v_pk_mul_f16 v85, 0x3b29ba62, v91 op_sel_hi:[1,0]
	v_pk_add_f16 v115, v117, v115
	v_pk_fma_f16 v117, 0x3722bbdd, v86, v87 op_sel_hi:[1,0,1]
	v_pk_mul_f16 v89, 0xbbb23964, v89 op_sel_hi:[1,0]
	v_pk_add_f16 v78, v81, v78
	v_pk_fma_f16 v81, 0x3722bbdd, v86, v87 op_sel_hi:[1,0,1] neg_lo:[0,0,1] neg_hi:[0,0,1]
	v_add_f16_e32 v0, v0, v14
	v_pk_add_f16 v83, v109, v83
	v_pk_fma_f16 v87, 0x3722b8d2, v90, v85 op_sel_hi:[1,0,1]
	v_pk_add_f16 v109, v117, v115
	v_pk_fma_f16 v115, 0xb46139e9, v88, v89 op_sel_hi:[1,0,1]
	v_pk_add_f16 v81, v81, v78
	v_pk_fma_f16 v89, 0xb46139e9, v88, v89 op_sel_hi:[1,0,1] neg_lo:[0,0,1] neg_hi:[0,0,1]
	v_add_f16_e32 v0, v0, v15
	v_pk_add_f16 v78, v83, v87
	v_pk_mul_f16 v83, 0x3bf7bbb2, v91 op_sel_hi:[1,0]
	v_pk_fma_f16 v91, 0xb8d2b461, v5, v106 op_sel_hi:[1,0,1] neg_lo:[0,0,1] neg_hi:[0,0,1]
	v_pk_add_f16 v81, v81, v89
	v_pk_fma_f16 v89, 0x2de83722, v5, v99 op_sel_hi:[1,0,1] neg_lo:[0,0,1] neg_hi:[0,0,1]
	v_pk_fma_f16 v5, 0x39e93b76, v5, v92 op_sel_hi:[1,0,1] neg_lo:[0,0,1] neg_hi:[0,0,1]
	v_add_f16_e32 v0, v0, v31
	v_pk_add_f16 v91, v91, v59 op_sel_hi:[1,0]
	v_pk_fma_f16 v92, 0xb461bacd, v79, v107 op_sel_hi:[1,0,1] neg_lo:[0,0,1] neg_hi:[0,0,1]
	v_pk_add_f16 v89, v89, v59 op_sel_hi:[1,0]
	v_pk_fma_f16 v100, 0xbbddb8d2, v79, v100 op_sel_hi:[1,0,1] neg_lo:[0,0,1] neg_hi:[0,0,1]
	;; [unrolled: 2-line block ×3, first 2 shown]
	v_add_f16_e32 v0, v0, v46
	v_pk_add_f16 v79, v92, v91
	v_pk_fma_f16 v91, 0x3b7639e9, v80, v111 op_sel_hi:[1,0,1] neg_lo:[0,0,1] neg_hi:[0,0,1]
	v_pk_add_f16 v89, v100, v89
	v_pk_fma_f16 v92, 0xb461bbdd, v80, v101 op_sel_hi:[1,0,1] neg_lo:[0,0,1] neg_hi:[0,0,1]
	v_pk_add_f16 v5, v59, v5
	v_pk_fma_f16 v59, 0xb8d23722, v80, v94 op_sel_hi:[1,0,1] neg_lo:[0,0,1] neg_hi:[0,0,1]
	v_add_f16_e32 v0, v47, v0
	v_pk_add_f16 v79, v91, v79
	v_pk_fma_f16 v80, 0xbacd3722, v82, v114 op_sel_hi:[1,0,1] neg_lo:[0,0,1] neg_hi:[0,0,1]
	v_pk_add_f16 v89, v92, v89
	v_pk_fma_f16 v91, 0x3b76b461, v82, v102 op_sel_hi:[1,0,1] neg_lo:[0,0,1] neg_hi:[0,0,1]
	v_pk_add_f16 v5, v59, v5
	v_pk_fma_f16 v59, 0xbbdd2de8, v82, v95 op_sel_hi:[1,0,1] neg_lo:[0,0,1] neg_hi:[0,0,1]
	;; [unrolled: 7-line block ×5, first 2 shown]
	v_add_f16_e32 v0, v0, v36
	v_pk_fma_f16 v99, 0x2de8b461, v90, v83 op_sel_hi:[1,0,1] neg_lo:[0,0,1] neg_hi:[0,0,1]
	v_pk_add_f16 v79, v79, v80
	v_pk_fma_f16 v80, 0x3722b8d2, v90, v85 op_sel_hi:[1,0,1] neg_lo:[0,0,1] neg_hi:[0,0,1]
	v_pk_add_f16 v82, v82, v84
	;; [unrolled: 2-line block ×3, first 2 shown]
	v_pk_fma_f16 v59, 0x3b76bbdd, v90, v113 op_sel_hi:[1,0,1] neg_lo:[0,0,1] neg_hi:[0,0,1]
	v_add_f16_e32 v0, v0, v38
	v_pk_add_f16 v87, v109, v115
	v_pk_fma_f16 v83, 0x2de8b461, v90, v83 op_sel_hi:[1,0,1]
	v_pk_add_f16 v81, v81, v99
	v_pk_add_f16 v85, v79, v80
	;; [unrolled: 1-line block ×4, first 2 shown]
	v_mad_u32_u24 v6, v7, 34, 0
	v_add_f16_e32 v0, v0, v41
	v_cmp_gt_u32_e64 s0, 48, v7
	v_pk_add_f16 v79, v87, v83
	v_alignbit_b32 v80, v81, v81, 16
	v_alignbit_b32 v81, v85, v85, 16
	;; [unrolled: 1-line block ×4, first 2 shown]
	ds_store_b16 v6, v0
	ds_store_b128 v6, v[76:79] offset:2
	ds_store_b128 v6, v[80:83] offset:18
	s_and_saveexec_b32 s1, s0
	s_cbranch_execz .LBB0_17
; %bb.16:
	v_sub_f16_e32 v59, v56, v23
	v_add_f16_e32 v5, v22, v55
	v_sub_f16_e32 v78, v54, v24
	v_add_f16_e32 v79, v21, v52
	v_sub_f16_e32 v81, v53, v25
	v_pk_mul_f16 v92, 0xb964b5c8, v59 op_sel_hi:[1,0]
	v_pk_mul_f16 v100, 0xbbf7bb29, v59 op_sel_hi:[1,0]
	;; [unrolled: 1-line block ×3, first 2 shown]
	v_add_f16_e32 v80, v20, v50
	v_sub_f16_e32 v83, v51, v26
	v_pk_fma_f16 v76, 0x39e93b76, v5, v92 op_sel_hi:[1,0,1]
	v_pk_mul_f16 v94, 0xba62bb29, v81 op_sel_hi:[1,0]
	v_pk_mul_f16 v101, 0xb1e1ba62, v78 op_sel_hi:[1,0]
	v_pk_fma_f16 v77, 0x2de839e9, v79, v93 op_sel_hi:[1,0,1]
	v_pk_fma_f16 v109, 0x2de83722, v5, v100 op_sel_hi:[1,0,1]
	v_pk_add_f16 v76, v57, v76 op_sel_hi:[0,1]
	v_add_f16_e32 v82, v19, v49
	v_sub_f16_e32 v85, v48, v27
	v_pk_mul_f16 v95, 0xb1e1bbf7, v83 op_sel_hi:[1,0]
	v_pk_mul_f16 v102, 0x3bb231e1, v81 op_sel_hi:[1,0]
	v_pk_fma_f16 v110, 0xb8d23722, v80, v94 op_sel_hi:[1,0,1]
	v_pk_fma_f16 v111, 0xbbddb8d2, v79, v101 op_sel_hi:[1,0,1]
	v_pk_add_f16 v76, v76, v77
	v_pk_add_f16 v77, v57, v109 op_sel_hi:[0,1]
	v_add_f16_e32 v84, v18, v45
	v_sub_f16_e32 v87, v43, v28
	v_pk_mul_f16 v96, 0x3836bbb2, v85 op_sel_hi:[1,0]
	v_pk_mul_f16 v103, 0x35c83bb2, v83 op_sel_hi:[1,0]
	v_pk_fma_f16 v109, 0xbbdd2de8, v82, v95 op_sel_hi:[1,0,1]
	v_pk_fma_f16 v112, 0xb461bbdd, v80, v102 op_sel_hi:[1,0,1]
	v_pk_add_f16 v76, v76, v110
	v_pk_add_f16 v77, v77, v111
	v_add_f16_e32 v86, v17, v44
	v_pk_mul_f16 v97, 0x3bb2ba62, v87 op_sel_hi:[1,0]
	v_pk_mul_f16 v104, 0xbb293964, v85 op_sel_hi:[1,0]
	v_pk_fma_f16 v110, 0xbacdb461, v84, v96 op_sel_hi:[1,0,1]
	v_pk_fma_f16 v111, 0x3b76b461, v82, v103 op_sel_hi:[1,0,1]
	v_pk_add_f16 v76, v76, v109
	v_pk_add_f16 v77, v77, v112
	v_sub_f16_e32 v89, v37, v29
	v_pk_mul_f16 v105, 0xb836b5c8, v87 op_sel_hi:[1,0]
	v_pk_mul_f16 v108, 0xba62bbb2, v59 op_sel_hi:[1,0]
	v_pk_fma_f16 v109, 0xb461b8d2, v86, v97 op_sel_hi:[1,0,1]
	v_pk_fma_f16 v112, 0x372239e9, v84, v104 op_sel_hi:[1,0,1]
	v_pk_add_f16 v76, v76, v110
	v_pk_add_f16 v77, v77, v111
	v_add_f16_e32 v88, v16, v42
	v_pk_mul_f16 v98, 0x3b29b836, v89 op_sel_hi:[1,0]
	v_pk_fma_f16 v111, 0xbacd3b76, v86, v105 op_sel_hi:[1,0,1]
	v_pk_add_f16 v76, v76, v109
	v_pk_add_f16 v77, v77, v112
	v_pk_mul_f16 v109, 0x3bb23836, v78 op_sel_hi:[1,0]
	v_pk_fma_f16 v112, 0xb8d2b461, v5, v108 op_sel_hi:[1,0,1]
	v_sub_f16_e32 v91, v32, v30
	v_pk_mul_f16 v106, 0x3a62bbf7, v89 op_sel_hi:[1,0]
	v_pk_fma_f16 v110, 0x3722bacd, v88, v98 op_sel_hi:[1,0,1]
	v_pk_add_f16 v77, v77, v111
	v_pk_add_f16 v111, v57, v112 op_sel_hi:[0,1]
	v_pk_fma_f16 v112, 0xb461bacd, v79, v109 op_sel_hi:[1,0,1]
	v_pk_mul_f16 v113, 0xb5c83964, v81 op_sel_hi:[1,0]
	v_add_f16_e32 v90, v39, v40
	v_pk_mul_f16 v107, 0x3964b836, v91 op_sel_hi:[1,0]
	v_pk_add_f16 v76, v110, v76
	v_pk_fma_f16 v110, 0xb8d22de8, v88, v106 op_sel_hi:[1,0,1]
	v_pk_add_f16 v111, v111, v112
	v_pk_fma_f16 v112, 0x3b7639e9, v80, v113 op_sel_hi:[1,0,1]
	v_pk_mul_f16 v115, 0xb836bb29, v83 op_sel_hi:[1,0]
	v_pk_mul_f16 v59, 0xb1e1b836, v59 op_sel_hi:[1,0]
	v_pk_add_f16 v77, v110, v77
	v_pk_fma_f16 v110, 0x39e9bacd, v90, v107 op_sel_hi:[1,0,1]
	v_pk_add_f16 v111, v111, v112
	v_pk_fma_f16 v112, 0xbacd3722, v82, v115 op_sel_hi:[1,0,1]
	v_pk_mul_f16 v99, 0x35c8b1e1, v91 op_sel_hi:[1,0]
	v_pk_mul_f16 v78, 0x35c83b29, v78 op_sel_hi:[1,0]
	v_pk_add_f16 v77, v110, v77
	v_pk_mul_f16 v110, 0x3bf7b1e1, v85 op_sel_hi:[1,0]
	v_pk_add_f16 v111, v111, v112
	v_pk_fma_f16 v112, 0xbbddbacd, v5, v59 op_sel_hi:[1,0,1]
	v_add_f16_e32 v0, v57, v22
	v_pk_fma_f16 v114, 0x3b76bbdd, v90, v99 op_sel_hi:[1,0,1]
	v_pk_fma_f16 v59, 0xbbddbacd, v5, v59 op_sel_hi:[1,0,1] neg_lo:[0,0,1] neg_hi:[0,0,1]
	v_pk_fma_f16 v118, 0x2de8bbdd, v84, v110 op_sel_hi:[1,0,1]
	v_pk_mul_f16 v81, 0xb836bbf7, v81 op_sel_hi:[1,0]
	v_pk_add_f16 v112, v57, v112 op_sel_hi:[0,1]
	v_pk_fma_f16 v119, 0x3b763722, v79, v78 op_sel_hi:[1,0,1]
	v_add_f16_e32 v0, v0, v21
	v_pk_add_f16 v76, v114, v76
	v_pk_mul_f16 v114, 0xb9643bf7, v87 op_sel_hi:[1,0]
	v_pk_add_f16 v59, v57, v59 op_sel_hi:[0,1]
	v_pk_fma_f16 v78, 0x3b763722, v79, v78 op_sel_hi:[1,0,1] neg_lo:[0,0,1] neg_hi:[0,0,1]
	v_pk_add_f16 v111, v111, v118
	v_pk_mul_f16 v83, 0x39643a62, v83 op_sel_hi:[1,0]
	v_pk_add_f16 v112, v112, v119
	v_pk_fma_f16 v118, 0xbacd2de8, v80, v81 op_sel_hi:[1,0,1]
	v_add_f16_e32 v0, v0, v20
	v_pk_add_f16 v59, v59, v78
	v_pk_fma_f16 v78, 0xbacd2de8, v80, v81 op_sel_hi:[1,0,1] neg_lo:[0,0,1] neg_hi:[0,0,1]
	v_pk_fma_f16 v81, 0x39e92de8, v86, v114 op_sel_hi:[1,0,1]
	v_pk_mul_f16 v85, 0xba62b5c8, v85 op_sel_hi:[1,0]
	v_pk_add_f16 v112, v112, v118
	v_pk_fma_f16 v118, 0x39e9b8d2, v82, v83 op_sel_hi:[1,0,1]
	v_add_f16_e32 v0, v0, v19
	v_pk_mul_f16 v116, 0xb1e1b5c8, v89 op_sel_hi:[1,0]
	v_pk_add_f16 v59, v59, v78
	v_pk_fma_f16 v78, 0x39e9b8d2, v82, v83 op_sel_hi:[1,0,1] neg_lo:[0,0,1] neg_hi:[0,0,1]
	v_pk_add_f16 v81, v111, v81
	v_pk_mul_f16 v83, 0x3b29b1e1, v87 op_sel_hi:[1,0]
	v_pk_add_f16 v87, v112, v118
	v_pk_fma_f16 v111, 0xb8d23b76, v84, v85 op_sel_hi:[1,0,1]
	v_add_f16_e32 v0, v0, v18
	v_pk_mul_f16 v117, 0x3b29ba62, v91 op_sel_hi:[1,0]
	v_pk_add_f16 v59, v59, v78
	v_pk_fma_f16 v78, 0xb8d23b76, v84, v85 op_sel_hi:[1,0,1] neg_lo:[0,0,1] neg_hi:[0,0,1]
	v_pk_fma_f16 v85, 0xbbdd3b76, v88, v116 op_sel_hi:[1,0,1]
	v_pk_mul_f16 v89, 0xbbb23964, v89 op_sel_hi:[1,0]
	v_pk_add_f16 v87, v87, v111
	v_pk_fma_f16 v111, 0x3722bbdd, v86, v83 op_sel_hi:[1,0,1]
	v_add_f16_e32 v0, v0, v17
	v_pk_add_f16 v59, v59, v78
	v_pk_fma_f16 v78, 0x3722bbdd, v86, v83 op_sel_hi:[1,0,1] neg_lo:[0,0,1] neg_hi:[0,0,1]
	v_pk_add_f16 v81, v85, v81
	v_pk_fma_f16 v83, 0x3722b8d2, v90, v117 op_sel_hi:[1,0,1]
	v_pk_add_f16 v85, v87, v111
	v_pk_fma_f16 v87, 0xb46139e9, v88, v89 op_sel_hi:[1,0,1]
	v_add_f16_e32 v0, v0, v16
	v_pk_add_f16 v59, v59, v78
	v_pk_add_f16 v78, v83, v81
	v_pk_mul_f16 v81, 0x3bf7bbb2, v91 op_sel_hi:[1,0]
	v_pk_add_f16 v83, v87, v85
	v_pk_fma_f16 v85, 0xb8d2b461, v5, v108 op_sel_hi:[1,0,1] neg_lo:[0,0,1] neg_hi:[0,0,1]
	v_pk_fma_f16 v87, 0x2de83722, v5, v100 op_sel_hi:[1,0,1] neg_lo:[0,0,1] neg_hi:[0,0,1]
	;; [unrolled: 1-line block ×3, first 2 shown]
	v_add_f16_e32 v0, v0, v39
	v_pk_fma_f16 v91, 0xb461bacd, v79, v109 op_sel_hi:[1,0,1] neg_lo:[0,0,1] neg_hi:[0,0,1]
	v_pk_add_f16 v85, v57, v85 op_sel_hi:[0,1]
	v_pk_add_f16 v87, v57, v87 op_sel_hi:[0,1]
	v_pk_fma_f16 v92, 0xbbddb8d2, v79, v101 op_sel_hi:[1,0,1] neg_lo:[0,0,1] neg_hi:[0,0,1]
	v_pk_add_f16 v5, v57, v5 op_sel_hi:[0,1]
	v_pk_fma_f16 v57, 0x2de839e9, v79, v93 op_sel_hi:[1,0,1] neg_lo:[0,0,1] neg_hi:[0,0,1]
	v_add_f16_e32 v0, v0, v40
	v_pk_add_f16 v79, v85, v91
	v_pk_fma_f16 v85, 0x3b7639e9, v80, v113 op_sel_hi:[1,0,1] neg_lo:[0,0,1] neg_hi:[0,0,1]
	v_pk_add_f16 v87, v87, v92
	v_pk_fma_f16 v91, 0xb461bbdd, v80, v102 op_sel_hi:[1,0,1] neg_lo:[0,0,1] neg_hi:[0,0,1]
	v_pk_add_f16 v5, v5, v57
	v_pk_fma_f16 v57, 0xb8d23722, v80, v94 op_sel_hi:[1,0,1] neg_lo:[0,0,1] neg_hi:[0,0,1]
	v_add_f16_e32 v0, v0, v42
	v_pk_add_f16 v79, v79, v85
	v_pk_fma_f16 v80, 0xbacd3722, v82, v115 op_sel_hi:[1,0,1] neg_lo:[0,0,1] neg_hi:[0,0,1]
	v_pk_add_f16 v85, v87, v91
	v_pk_fma_f16 v87, 0x3b76b461, v82, v103 op_sel_hi:[1,0,1] neg_lo:[0,0,1] neg_hi:[0,0,1]
	v_pk_add_f16 v5, v5, v57
	v_pk_fma_f16 v57, 0xbbdd2de8, v82, v95 op_sel_hi:[1,0,1] neg_lo:[0,0,1] neg_hi:[0,0,1]
	v_add_f16_e32 v0, v0, v44
	v_pk_add_f16 v79, v79, v80
	v_pk_fma_f16 v80, 0x2de8bbdd, v84, v110 op_sel_hi:[1,0,1] neg_lo:[0,0,1] neg_hi:[0,0,1]
	v_pk_add_f16 v82, v85, v87
	v_pk_fma_f16 v85, 0x372239e9, v84, v104 op_sel_hi:[1,0,1] neg_lo:[0,0,1] neg_hi:[0,0,1]
	v_pk_add_f16 v5, v5, v57
	v_pk_fma_f16 v57, 0xbacdb461, v84, v96 op_sel_hi:[1,0,1] neg_lo:[0,0,1] neg_hi:[0,0,1]
	v_add_f16_e32 v0, v45, v0
	v_pk_add_f16 v79, v79, v80
	v_pk_fma_f16 v80, 0x39e92de8, v86, v114 op_sel_hi:[1,0,1] neg_lo:[0,0,1] neg_hi:[0,0,1]
	v_pk_add_f16 v82, v82, v85
	v_pk_fma_f16 v84, 0xbacd3b76, v86, v105 op_sel_hi:[1,0,1] neg_lo:[0,0,1] neg_hi:[0,0,1]
	v_pk_add_f16 v5, v5, v57
	v_pk_fma_f16 v57, 0xb461b8d2, v86, v97 op_sel_hi:[1,0,1] neg_lo:[0,0,1] neg_hi:[0,0,1]
	v_add_f16_e32 v0, v49, v0
	v_pk_fma_f16 v89, 0xb46139e9, v88, v89 op_sel_hi:[1,0,1] neg_lo:[0,0,1] neg_hi:[0,0,1]
	v_pk_add_f16 v79, v79, v80
	v_pk_fma_f16 v80, 0xbbdd3b76, v88, v116 op_sel_hi:[1,0,1] neg_lo:[0,0,1] neg_hi:[0,0,1]
	v_pk_add_f16 v82, v82, v84
	;; [unrolled: 2-line block ×3, first 2 shown]
	v_pk_fma_f16 v57, 0x3722bacd, v88, v98 op_sel_hi:[1,0,1] neg_lo:[0,0,1] neg_hi:[0,0,1]
	v_add_f16_e32 v0, v50, v0
	v_pk_add_f16 v59, v89, v59
	v_pk_fma_f16 v89, 0x2de8b461, v90, v81 op_sel_hi:[1,0,1] neg_lo:[0,0,1] neg_hi:[0,0,1]
	v_pk_add_f16 v79, v80, v79
	v_pk_fma_f16 v80, 0x3722b8d2, v90, v117 op_sel_hi:[1,0,1] neg_lo:[0,0,1] neg_hi:[0,0,1]
	;; [unrolled: 2-line block ×4, first 2 shown]
	v_add_f16_e32 v0, v52, v0
	v_pk_fma_f16 v81, 0x2de8b461, v90, v81 op_sel_hi:[1,0,1]
	v_pk_add_f16 v59, v89, v59
	v_pk_add_f16 v85, v80, v79
	;; [unrolled: 1-line block ×4, first 2 shown]
	v_add_f16_e32 v0, v55, v0
	v_pk_add_f16 v79, v81, v83
	v_alignbit_b32 v80, v59, v59, 16
	v_alignbit_b32 v81, v85, v85, 16
	;; [unrolled: 1-line block ×4, first 2 shown]
	ds_store_b16 v6, v0 offset:1734
	ds_store_b128 v6, v[76:79] offset:1736
	ds_store_b128 v6, v[80:83] offset:1752
.LBB0_17:
	s_wait_alu 0xfffe
	s_or_b32 exec_lo, exec_lo, s1
	v_add_f16_e32 v0, v58, v73
	v_sub_f16_e32 v41, v9, v41
	v_add_f16_e32 v5, v73, v60
	v_sub_f16_e32 v38, v10, v38
	v_add_f16_e32 v57, v74, v61
	v_add_f16_e32 v0, v0, v74
	v_pk_mul_f16 v9, 0xb964b5c8, v41 op_sel_hi:[1,0]
	v_sub_f16_e32 v11, v11, v36
	v_add_f16_e32 v81, v75, v66
	v_pk_mul_f16 v10, 0xbbf7b964, v38 op_sel_hi:[1,0]
	v_add_f16_e32 v0, v0, v72
	v_add_f16_e32 v59, v72, v62
	v_sub_f16_e32 v12, v12, v35
	v_sub_f16_e32 v13, v13, v34
	;; [unrolled: 1-line block ×3, first 2 shown]
	v_add_f16_e32 v0, v0, v71
	v_pk_mul_f16 v46, 0xba62bb29, v11 op_sel_hi:[1,0]
	v_pk_fma_f16 v77, 0x2de839e9, v57, v10 op_sel_hi:[1,0,1] neg_lo:[0,0,1] neg_hi:[0,0,1]
	v_add_f16_e32 v36, v71, v63
	v_add_f16_e32 v35, v70, v64
	;; [unrolled: 1-line block ×4, first 2 shown]
	v_sub_f16_e32 v14, v14, v33
	v_add_f16_e32 v33, v69, v67
	v_sub_f16_e32 v15, v15, v47
	v_add_f16_e32 v0, v0, v68
	v_pk_mul_f16 v47, 0xb1e1bbf7, v12 op_sel_hi:[1,0]
	v_pk_mul_f16 v68, 0x3836bbb2, v13 op_sel_hi:[1,0]
	v_pk_fma_f16 v78, 0xb8d23722, v59, v46 op_sel_hi:[1,0,1] neg_lo:[0,0,1] neg_hi:[0,0,1]
	v_pk_mul_f16 v73, 0xb1e1ba62, v38 op_sel_hi:[1,0]
	v_add_f16_e32 v0, v0, v67
	v_pk_mul_f16 v67, 0xbbf7bb29, v41 op_sel_hi:[1,0]
	v_pk_fma_f16 v79, 0xbbdd2de8, v36, v47 op_sel_hi:[1,0,1] neg_lo:[0,0,1] neg_hi:[0,0,1]
	v_pk_fma_f16 v10, 0x2de839e9, v57, v10 op_sel_hi:[1,0,1]
	v_pk_mul_f16 v70, 0x3bb2ba62, v14 op_sel_hi:[1,0]
	v_add_f16_e32 v0, v0, v66
	v_pk_fma_f16 v66, 0x39e93b76, v5, v9 op_sel_hi:[1,0,1] neg_lo:[0,0,1] neg_hi:[0,0,1]
	v_pk_fma_f16 v9, 0x39e93b76, v5, v9 op_sel_hi:[1,0,1]
	v_pk_mul_f16 v74, 0x3bb231e1, v11 op_sel_hi:[1,0]
	v_pk_fma_f16 v46, 0xb8d23722, v59, v46 op_sel_hi:[1,0,1]
	v_add_f16_e32 v0, v0, v75
	v_pk_add_f16 v66, v66, v58 op_sel_hi:[1,0]
	v_pk_fma_f16 v75, 0xbacdb461, v35, v68 op_sel_hi:[1,0,1] neg_lo:[0,0,1] neg_hi:[0,0,1]
	v_pk_add_f16 v9, v9, v58 op_sel_hi:[1,0]
	v_pk_mul_f16 v71, 0x3b29b836, v15 op_sel_hi:[1,0]
	v_add_f16_e32 v0, v69, v0
	v_pk_add_f16 v66, v77, v66
	v_pk_mul_f16 v76, 0x35c83bb2, v12 op_sel_hi:[1,0]
	v_pk_add_f16 v9, v10, v9
	v_pk_fma_f16 v80, 0xb461b8d2, v34, v70 op_sel_hi:[1,0,1] neg_lo:[0,0,1] neg_hi:[0,0,1]
	v_add_f16_e32 v0, v0, v65
	v_pk_fma_f16 v65, 0xbacdb461, v35, v68 op_sel_hi:[1,0,1]
	v_pk_add_f16 v66, v78, v66
	v_pk_fma_f16 v68, 0x2de83722, v5, v67 op_sel_hi:[1,0,1] neg_lo:[0,0,1] neg_hi:[0,0,1]
	v_pk_fma_f16 v47, 0xbbdd2de8, v36, v47 op_sel_hi:[1,0,1]
	v_add_f16_e32 v0, v0, v64
	v_pk_add_f16 v9, v46, v9
	v_pk_add_f16 v10, v79, v66
	v_pk_add_f16 v66, v68, v58 op_sel_hi:[1,0]
	v_pk_fma_f16 v46, 0xb461bbdd, v59, v74 op_sel_hi:[1,0,1] neg_lo:[0,0,1] neg_hi:[0,0,1]
	v_add_f16_e32 v0, v0, v63
	v_pk_fma_f16 v63, 0xbbddb8d2, v57, v73 op_sel_hi:[1,0,1] neg_lo:[0,0,1] neg_hi:[0,0,1]
	v_pk_add_f16 v10, v75, v10
	v_pk_mul_f16 v72, 0x35c8b1e1, v31 op_sel_hi:[1,0]
	v_pk_fma_f16 v82, 0x3722bacd, v33, v71 op_sel_hi:[1,0,1] neg_lo:[0,0,1] neg_hi:[0,0,1]
	v_add_f16_e32 v0, v0, v62
	v_pk_add_f16 v62, v63, v66
	v_pk_add_f16 v9, v47, v9
	;; [unrolled: 1-line block ×3, first 2 shown]
	v_pk_fma_f16 v47, 0x3b76b461, v36, v76 op_sel_hi:[1,0,1] neg_lo:[0,0,1] neg_hi:[0,0,1]
	v_add_f16_e32 v0, v0, v61
	v_pk_add_f16 v46, v46, v62
	v_pk_fma_f16 v64, 0xb461b8d2, v34, v70 op_sel_hi:[1,0,1]
	v_pk_add_f16 v9, v65, v9
	v_pk_add_f16 v10, v10, v82
	v_add_f16_e32 v85, v0, v60
	v_pk_mul_f16 v0, 0xbb293964, v13 op_sel_hi:[1,0]
	v_pk_fma_f16 v60, 0x3b76bbdd, v81, v72 op_sel_hi:[1,0,1] neg_lo:[0,0,1] neg_hi:[0,0,1]
	v_pk_add_f16 v46, v47, v46
	v_pk_mul_f16 v63, 0xb836b5c8, v14 op_sel_hi:[1,0]
	v_pk_add_f16 v61, v64, v9
	v_pk_fma_f16 v47, 0x372239e9, v35, v0 op_sel_hi:[1,0,1] neg_lo:[0,0,1] neg_hi:[0,0,1]
	v_pk_fma_f16 v62, 0x3722bacd, v33, v71 op_sel_hi:[1,0,1]
	v_pk_add_f16 v9, v10, v60
	v_pk_fma_f16 v10, 0x2de83722, v5, v67 op_sel_hi:[1,0,1]
	v_pk_fma_f16 v64, 0x3b76bbdd, v81, v72 op_sel_hi:[1,0,1]
	v_pk_add_f16 v46, v47, v46
	v_pk_fma_f16 v47, 0xbacd3b76, v34, v63 op_sel_hi:[1,0,1] neg_lo:[0,0,1] neg_hi:[0,0,1]
	v_pk_add_f16 v60, v61, v62
	v_pk_mul_f16 v61, 0x3a62bbf7, v15 op_sel_hi:[1,0]
	v_pk_add_f16 v10, v10, v58 op_sel_hi:[1,0]
	v_pk_fma_f16 v62, 0xbbddb8d2, v57, v73 op_sel_hi:[1,0,1]
	v_pk_add_f16 v46, v47, v46
	v_pk_mul_f16 v47, 0xba62bbb2, v41 op_sel_hi:[1,0]
	v_pk_fma_f16 v65, 0xb8d22de8, v33, v61 op_sel_hi:[1,0,1] neg_lo:[0,0,1] neg_hi:[0,0,1]
	v_pk_add_f16 v84, v60, v64
	v_pk_add_f16 v10, v62, v10
	v_pk_fma_f16 v62, 0xb461bbdd, v59, v74 op_sel_hi:[1,0,1]
	v_pk_fma_f16 v60, 0xb8d2b461, v5, v47 op_sel_hi:[1,0,1] neg_lo:[0,0,1] neg_hi:[0,0,1]
	v_pk_mul_f16 v64, 0x3bb23836, v38 op_sel_hi:[1,0]
	v_pk_add_f16 v46, v46, v65
	v_pk_mul_f16 v66, 0xb5c83964, v11 op_sel_hi:[1,0]
	v_pk_add_f16 v10, v62, v10
	v_pk_fma_f16 v62, 0x3b76b461, v36, v76 op_sel_hi:[1,0,1]
	v_pk_add_f16 v60, v60, v58 op_sel_hi:[1,0]
	v_pk_fma_f16 v65, 0xb461bacd, v57, v64 op_sel_hi:[1,0,1] neg_lo:[0,0,1] neg_hi:[0,0,1]
	v_pk_mul_f16 v67, 0x3964b836, v31 op_sel_hi:[1,0]
	v_pk_fma_f16 v0, 0x372239e9, v35, v0 op_sel_hi:[1,0,1]
	v_pk_add_f16 v10, v62, v10
	v_pk_fma_f16 v62, 0x3b7639e9, v59, v66 op_sel_hi:[1,0,1] neg_lo:[0,0,1] neg_hi:[0,0,1]
	v_pk_add_f16 v60, v65, v60
	v_pk_mul_f16 v65, 0xb836bb29, v12 op_sel_hi:[1,0]
	v_pk_fma_f16 v68, 0x39e9bacd, v81, v67 op_sel_hi:[1,0,1] neg_lo:[0,0,1] neg_hi:[0,0,1]
	v_pk_mul_f16 v69, 0x3bf7b1e1, v13 op_sel_hi:[1,0]
	v_pk_add_f16 v0, v0, v10
	v_pk_add_f16 v60, v62, v60
	v_pk_fma_f16 v62, 0xbacd3722, v36, v65 op_sel_hi:[1,0,1] neg_lo:[0,0,1] neg_hi:[0,0,1]
	v_pk_fma_f16 v63, 0xbacd3b76, v34, v63 op_sel_hi:[1,0,1]
	v_pk_add_f16 v10, v46, v68
	v_pk_fma_f16 v46, 0xb8d2b461, v5, v47 op_sel_hi:[1,0,1]
	v_pk_fma_f16 v61, 0xb8d22de8, v33, v61 op_sel_hi:[1,0,1]
	v_pk_add_f16 v47, v62, v60
	v_pk_fma_f16 v60, 0x2de8bbdd, v35, v69 op_sel_hi:[1,0,1] neg_lo:[0,0,1] neg_hi:[0,0,1]
	v_pk_mul_f16 v62, 0xb9643bf7, v14 op_sel_hi:[1,0]
	v_pk_add_f16 v0, v63, v0
	v_pk_add_f16 v46, v46, v58 op_sel_hi:[1,0]
	v_pk_fma_f16 v63, 0xb461bacd, v57, v64 op_sel_hi:[1,0,1]
	v_pk_add_f16 v47, v60, v47
	v_pk_fma_f16 v60, 0x39e92de8, v34, v62 op_sel_hi:[1,0,1] neg_lo:[0,0,1] neg_hi:[0,0,1]
	v_pk_mul_f16 v64, 0xb1e1b5c8, v15 op_sel_hi:[1,0]
	v_pk_add_f16 v82, v0, v61
	v_pk_add_f16 v0, v63, v46
	v_pk_fma_f16 v46, 0x3b7639e9, v59, v66 op_sel_hi:[1,0,1]
	v_pk_add_f16 v47, v60, v47
	v_pk_fma_f16 v60, 0xbbdd3b76, v33, v64 op_sel_hi:[1,0,1] neg_lo:[0,0,1] neg_hi:[0,0,1]
	v_pk_mul_f16 v41, 0xb1e1b836, v41 op_sel_hi:[1,0]
	v_pk_mul_f16 v38, 0x35c83b29, v38 op_sel_hi:[1,0]
	v_pk_add_f16 v0, v46, v0
	v_pk_fma_f16 v46, 0xbacd3722, v36, v65 op_sel_hi:[1,0,1]
	v_pk_add_f16 v86, v47, v60
	v_pk_fma_f16 v60, 0xbbddbacd, v5, v41 op_sel_hi:[1,0,1] neg_lo:[0,0,1] neg_hi:[0,0,1]
	v_pk_fma_f16 v5, 0xbbddbacd, v5, v41 op_sel_hi:[1,0,1]
	v_pk_fma_f16 v41, 0x2de8bbdd, v35, v69 op_sel_hi:[1,0,1]
	v_pk_add_f16 v0, v46, v0
	v_pk_mul_f16 v11, 0xb836bbf7, v11 op_sel_hi:[1,0]
	v_pk_add_f16 v46, v60, v58 op_sel_hi:[1,0]
	v_pk_fma_f16 v60, 0x3b763722, v57, v38 op_sel_hi:[1,0,1] neg_lo:[0,0,1] neg_hi:[0,0,1]
	v_pk_add_f16 v5, v5, v58 op_sel_hi:[1,0]
	v_pk_fma_f16 v38, 0x3b763722, v57, v38 op_sel_hi:[1,0,1]
	v_pk_add_f16 v0, v41, v0
	v_pk_mul_f16 v12, 0x39643a62, v12 op_sel_hi:[1,0]
	v_pk_add_f16 v41, v60, v46
	v_pk_fma_f16 v46, 0xbacd2de8, v59, v11 op_sel_hi:[1,0,1] neg_lo:[0,0,1] neg_hi:[0,0,1]
	v_pk_add_f16 v5, v38, v5
	v_pk_fma_f16 v11, 0xbacd2de8, v59, v11 op_sel_hi:[1,0,1]
	v_pk_mul_f16 v13, 0xba62b5c8, v13 op_sel_hi:[1,0]
	v_pk_fma_f16 v38, 0x39e92de8, v34, v62 op_sel_hi:[1,0,1]
	v_pk_add_f16 v41, v46, v41
	v_pk_fma_f16 v46, 0x39e9b8d2, v36, v12 op_sel_hi:[1,0,1] neg_lo:[0,0,1] neg_hi:[0,0,1]
	v_pk_add_f16 v5, v11, v5
	v_pk_fma_f16 v11, 0x39e9b8d2, v36, v12 op_sel_hi:[1,0,1]
	v_pk_fma_f16 v36, 0xb8d23b76, v35, v13 op_sel_hi:[1,0,1] neg_lo:[0,0,1] neg_hi:[0,0,1]
	v_pk_mul_f16 v14, 0x3b29b1e1, v14 op_sel_hi:[1,0]
	v_pk_add_f16 v12, v46, v41
	v_pk_add_f16 v0, v38, v0
	v_pk_add_f16 v5, v11, v5
	v_pk_fma_f16 v11, 0xb8d23b76, v35, v13 op_sel_hi:[1,0,1]
	v_pk_fma_f16 v13, 0xbbdd3b76, v33, v64 op_sel_hi:[1,0,1]
	v_pk_add_f16 v12, v36, v12
	v_pk_fma_f16 v35, 0x3722bbdd, v34, v14 op_sel_hi:[1,0,1] neg_lo:[0,0,1] neg_hi:[0,0,1]
	v_pk_mul_f16 v15, 0xbbb23964, v15 op_sel_hi:[1,0]
	v_pk_add_f16 v5, v11, v5
	v_pk_fma_f16 v11, 0x3722bbdd, v34, v14 op_sel_hi:[1,0,1]
	v_pk_add_f16 v13, v0, v13
	v_pk_add_f16 v0, v35, v12
	v_pk_fma_f16 v12, 0xb46139e9, v33, v15 op_sel_hi:[1,0,1] neg_lo:[0,0,1] neg_hi:[0,0,1]
	v_pk_mul_f16 v47, 0x3b29ba62, v31 op_sel_hi:[1,0]
	v_pk_add_f16 v5, v11, v5
	v_pk_fma_f16 v11, 0xb46139e9, v33, v15 op_sel_hi:[1,0,1]
	v_lshlrev_b32_e32 v15, 5, v7
	v_pk_add_f16 v12, v0, v12
	v_pk_fma_f16 v83, 0x39e9bacd, v81, v67 op_sel_hi:[1,0,1]
	v_pk_fma_f16 v14, 0x3722b8d2, v81, v47 op_sel_hi:[1,0,1] neg_lo:[0,0,1] neg_hi:[0,0,1]
	v_pk_fma_f16 v87, 0x3722b8d2, v81, v47 op_sel_hi:[1,0,1]
	v_sub_nc_u32_e32 v0, v6, v15
	v_pk_mul_f16 v88, 0x3bf7bbb2, v31 op_sel_hi:[1,0]
	global_wb scope:SCOPE_SE
	s_wait_dscnt 0x0
	s_wait_kmcnt 0x0
	s_barrier_signal -1
	s_barrier_wait -1
	global_inv scope:SCOPE_SE
	ds_load_u16 v76, v0 offset:2346
	ds_load_u16 v78, v0 offset:1224
	ds_load_u16 v75, v0 offset:1326
	ds_load_u16 v73, v0 offset:1428
	ds_load_u16 v61, v0 offset:1530
	ds_load_u16 v58, v0
	ds_load_u16 v57, v0 offset:102
	ds_load_u16 v47, v0 offset:204
	ds_load_u16 v46, v0 offset:306
	ds_load_u16 v41, v0 offset:408
	ds_load_u16 v38, v0 offset:510
	ds_load_u16 v35, v0 offset:612
	ds_load_u16 v34, v0 offset:714
	ds_load_u16 v31, v0 offset:816
	ds_load_u16 v33, v0 offset:918
	ds_load_u16 v68, v0 offset:1632
	ds_load_u16 v66, v0 offset:1734
	ds_load_u16 v62, v0 offset:1836
	ds_load_u16 v60, v0 offset:1938
	ds_load_u16 v59, v0 offset:2040
	ds_load_u16 v77, v0 offset:2448
	ds_load_u16 v74, v0 offset:2550
	ds_load_u16 v72, v0 offset:2652
	ds_load_u16 v71, v0 offset:2754
	ds_load_u16 v70, v0 offset:2856
	ds_load_u16 v69, v0 offset:2958
	ds_load_u16 v67, v0 offset:3060
	ds_load_u16 v63, v0 offset:3162
	ds_load_u16 v80, v0 offset:1122
	ds_load_u16 v36, v0 offset:1020
	ds_load_u16 v79, v0 offset:2244
	ds_load_u16 v65, v0 offset:2142
	ds_load_u16 v64, v0 offset:3264
	v_pk_add_f16 v5, v5, v11
	v_pk_fma_f16 v15, 0x2de8b461, v81, v88 op_sel_hi:[1,0,1]
	v_pk_fma_f16 v81, 0x2de8b461, v81, v88 op_sel_hi:[1,0,1] neg_lo:[0,0,1] neg_hi:[0,0,1]
	v_pk_add_f16 v83, v82, v83
	v_pk_add_f16 v11, v86, v14
	;; [unrolled: 1-line block ×4, first 2 shown]
	v_add_nc_u32_e32 v5, 51, v7
	v_pk_add_f16 v12, v12, v81
	v_alignbit_b32 v83, v83, v83, 16
	v_alignbit_b32 v82, v13, v13, 16
	;; [unrolled: 1-line block ×4, first 2 shown]
	global_wb scope:SCOPE_SE
	s_wait_dscnt 0x0
	s_barrier_signal -1
	s_barrier_wait -1
	global_inv scope:SCOPE_SE
	ds_store_b16 v6, v85
	ds_store_b128 v6, v[9:12] offset:2
	ds_store_b128 v6, v[81:84] offset:18
	s_and_saveexec_b32 s1, s0
	s_cbranch_execz .LBB0_19
; %bb.18:
	v_add_f16_e32 v6, v8, v56
	v_sub_f16_e32 v12, v22, v55
	v_add_f16_e32 v11, v56, v23
	v_sub_f16_e32 v14, v21, v52
	v_add_f16_e32 v13, v54, v24
	v_add_f16_e32 v6, v6, v54
	v_pk_mul_f16 v9, 0xb964b5c8, v12 op_sel_hi:[1,0]
	v_sub_f16_e32 v20, v20, v50
	v_sub_f16_e32 v16, v16, v42
	v_add_f16_e32 v42, v32, v30
	v_add_f16_e32 v6, v6, v53
	v_pk_mul_f16 v10, 0xbbf7b964, v14 op_sel_hi:[1,0]
	v_add_f16_e32 v15, v53, v25
	v_sub_f16_e32 v19, v19, v49
	v_sub_f16_e32 v39, v39, v40
	v_add_f16_e32 v6, v6, v51
	v_pk_mul_f16 v40, 0xba62bb29, v20 op_sel_hi:[1,0]
	v_pk_fma_f16 v55, 0x2de839e9, v13, v10 op_sel_hi:[1,0,1] neg_lo:[0,0,1] neg_hi:[0,0,1]
	v_add_f16_e32 v21, v51, v26
	v_add_f16_e32 v22, v48, v27
	;; [unrolled: 1-line block ×3, first 2 shown]
	v_sub_f16_e32 v18, v18, v45
	v_sub_f16_e32 v17, v17, v44
	v_add_f16_e32 v44, v37, v29
	v_pk_mul_f16 v48, 0xb1e1bbf7, v19 op_sel_hi:[1,0]
	v_add_f16_e32 v6, v6, v43
	v_pk_fma_f16 v56, 0xb8d23722, v15, v40 op_sel_hi:[1,0,1] neg_lo:[0,0,1] neg_hi:[0,0,1]
	v_pk_fma_f16 v10, 0x2de839e9, v13, v10 op_sel_hi:[1,0,1]
	v_add_f16_e32 v45, v43, v28
	v_pk_mul_f16 v43, 0x3836bbb2, v18 op_sel_hi:[1,0]
	v_add_f16_e32 v6, v6, v37
	v_pk_mul_f16 v37, 0xbbf7bb29, v12 op_sel_hi:[1,0]
	v_pk_mul_f16 v52, 0xb1e1ba62, v14 op_sel_hi:[1,0]
	v_pk_fma_f16 v81, 0xbbdd2de8, v21, v48 op_sel_hi:[1,0,1] neg_lo:[0,0,1] neg_hi:[0,0,1]
	v_pk_mul_f16 v49, 0x3bb2ba62, v17 op_sel_hi:[1,0]
	v_add_f16_e32 v6, v6, v32
	v_pk_fma_f16 v32, 0x39e93b76, v11, v9 op_sel_hi:[1,0,1] neg_lo:[0,0,1] neg_hi:[0,0,1]
	v_pk_fma_f16 v9, 0x39e93b76, v11, v9 op_sel_hi:[1,0,1]
	v_pk_mul_f16 v53, 0x3bb231e1, v20 op_sel_hi:[1,0]
	v_pk_mul_f16 v50, 0x3b29b836, v16 op_sel_hi:[1,0]
	v_add_f16_e32 v6, v6, v30
	v_pk_add_f16 v32, v8, v32 op_sel_hi:[0,1]
	v_pk_add_f16 v9, v8, v9 op_sel_hi:[0,1]
	v_pk_fma_f16 v30, 0xbacdb461, v22, v43 op_sel_hi:[1,0,1] neg_lo:[0,0,1] neg_hi:[0,0,1]
	v_pk_fma_f16 v82, 0xb461b8d2, v45, v49 op_sel_hi:[1,0,1] neg_lo:[0,0,1] neg_hi:[0,0,1]
	v_add_f16_e32 v6, v6, v29
	v_pk_add_f16 v32, v32, v55
	v_pk_fma_f16 v29, 0xb8d23722, v15, v40 op_sel_hi:[1,0,1]
	v_pk_add_f16 v9, v9, v10
	v_pk_fma_f16 v40, 0xbacdb461, v22, v43 op_sel_hi:[1,0,1]
	v_add_f16_e32 v6, v6, v28
	v_pk_add_f16 v32, v32, v56
	v_pk_fma_f16 v28, 0xbbdd2de8, v21, v48 op_sel_hi:[1,0,1]
	v_pk_add_f16 v9, v9, v29
	v_pk_mul_f16 v51, 0x35c8b1e1, v39 op_sel_hi:[1,0]
	v_add_f16_e32 v6, v27, v6
	v_pk_fma_f16 v27, 0x2de83722, v11, v37 op_sel_hi:[1,0,1] neg_lo:[0,0,1] neg_hi:[0,0,1]
	v_pk_add_f16 v29, v32, v81
	v_pk_add_f16 v9, v9, v28
	v_pk_fma_f16 v83, 0x3722bacd, v44, v50 op_sel_hi:[1,0,1] neg_lo:[0,0,1] neg_hi:[0,0,1]
	v_add_f16_e32 v6, v26, v6
	v_pk_fma_f16 v26, 0xbbddb8d2, v13, v52 op_sel_hi:[1,0,1] neg_lo:[0,0,1] neg_hi:[0,0,1]
	v_pk_add_f16 v27, v8, v27 op_sel_hi:[0,1]
	v_pk_fma_f16 v10, 0xb461b8d2, v45, v49 op_sel_hi:[1,0,1]
	v_pk_add_f16 v9, v9, v40
	v_add_f16_e32 v6, v25, v6
	v_pk_fma_f16 v25, 0xb461bbdd, v15, v53 op_sel_hi:[1,0,1] neg_lo:[0,0,1] neg_hi:[0,0,1]
	v_pk_add_f16 v26, v27, v26
	v_pk_add_f16 v27, v29, v30
	v_pk_mul_f16 v54, 0x35c83bb2, v19 op_sel_hi:[1,0]
	v_add_f16_e32 v6, v24, v6
	v_pk_fma_f16 v24, 0x3722bacd, v44, v50 op_sel_hi:[1,0,1]
	v_pk_add_f16 v25, v26, v25
	v_pk_add_f16 v26, v27, v82
	;; [unrolled: 1-line block ×3, first 2 shown]
	v_pk_fma_f16 v27, 0x3b76bbdd, v42, v51 op_sel_hi:[1,0,1] neg_lo:[0,0,1] neg_hi:[0,0,1]
	v_add_f16_e32 v6, v23, v6
	v_pk_fma_f16 v10, 0x3b76b461, v21, v54 op_sel_hi:[1,0,1] neg_lo:[0,0,1] neg_hi:[0,0,1]
	v_pk_add_f16 v26, v83, v26
	v_pk_mul_f16 v23, 0xbb293964, v18 op_sel_hi:[1,0]
	v_pk_add_f16 v24, v24, v9
	v_pk_fma_f16 v29, 0x3b76bbdd, v42, v51 op_sel_hi:[1,0,1]
	v_pk_add_f16 v10, v25, v10
	v_pk_add_f16 v9, v27, v26
	v_pk_fma_f16 v26, 0x2de83722, v11, v37 op_sel_hi:[1,0,1]
	v_pk_fma_f16 v25, 0x372239e9, v22, v23 op_sel_hi:[1,0,1] neg_lo:[0,0,1] neg_hi:[0,0,1]
	v_pk_mul_f16 v28, 0xb836b5c8, v17 op_sel_hi:[1,0]
	v_pk_add_f16 v24, v29, v24
	v_pk_fma_f16 v29, 0xbbddb8d2, v13, v52 op_sel_hi:[1,0,1]
	v_pk_add_f16 v26, v8, v26 op_sel_hi:[0,1]
	v_pk_add_f16 v10, v10, v25
	v_pk_fma_f16 v25, 0xbacd3b76, v45, v28 op_sel_hi:[1,0,1] neg_lo:[0,0,1] neg_hi:[0,0,1]
	v_pk_mul_f16 v27, 0xba62bbb2, v12 op_sel_hi:[1,0]
	v_pk_mul_f16 v32, 0x3bb23836, v14 op_sel_hi:[1,0]
	v_pk_add_f16 v26, v26, v29
	v_pk_fma_f16 v29, 0xb461bbdd, v15, v53 op_sel_hi:[1,0,1]
	v_pk_add_f16 v10, v10, v25
	v_pk_mul_f16 v25, 0x3a62bbf7, v16 op_sel_hi:[1,0]
	v_pk_fma_f16 v30, 0xb8d2b461, v11, v27 op_sel_hi:[1,0,1] neg_lo:[0,0,1] neg_hi:[0,0,1]
	v_pk_fma_f16 v40, 0xb461bacd, v13, v32 op_sel_hi:[1,0,1] neg_lo:[0,0,1] neg_hi:[0,0,1]
	v_pk_add_f16 v26, v26, v29
	v_pk_fma_f16 v29, 0x3b76b461, v21, v54 op_sel_hi:[1,0,1]
	v_pk_fma_f16 v37, 0xb8d22de8, v44, v25 op_sel_hi:[1,0,1] neg_lo:[0,0,1] neg_hi:[0,0,1]
	v_pk_add_f16 v30, v8, v30 op_sel_hi:[0,1]
	v_pk_mul_f16 v43, 0xb5c83964, v20 op_sel_hi:[1,0]
	v_pk_fma_f16 v23, 0x372239e9, v22, v23 op_sel_hi:[1,0,1]
	v_pk_add_f16 v26, v26, v29
	v_pk_add_f16 v10, v37, v10
	;; [unrolled: 1-line block ×3, first 2 shown]
	v_pk_fma_f16 v37, 0x3b7639e9, v15, v43 op_sel_hi:[1,0,1] neg_lo:[0,0,1] neg_hi:[0,0,1]
	v_pk_mul_f16 v40, 0xb836bb29, v19 op_sel_hi:[1,0]
	v_pk_add_f16 v23, v26, v23
	v_pk_fma_f16 v26, 0xbacd3b76, v45, v28 op_sel_hi:[1,0,1]
	v_pk_mul_f16 v29, 0x3964b836, v39 op_sel_hi:[1,0]
	v_pk_add_f16 v30, v30, v37
	v_pk_fma_f16 v37, 0xbacd3722, v21, v40 op_sel_hi:[1,0,1] neg_lo:[0,0,1] neg_hi:[0,0,1]
	v_pk_mul_f16 v48, 0x3bf7b1e1, v18 op_sel_hi:[1,0]
	v_pk_add_f16 v23, v23, v26
	v_pk_fma_f16 v26, 0xb8d2b461, v11, v27 op_sel_hi:[1,0,1]
	v_pk_fma_f16 v28, 0x39e9bacd, v42, v29 op_sel_hi:[1,0,1] neg_lo:[0,0,1] neg_hi:[0,0,1]
	v_pk_add_f16 v30, v30, v37
	v_pk_fma_f16 v37, 0x2de8bbdd, v22, v48 op_sel_hi:[1,0,1] neg_lo:[0,0,1] neg_hi:[0,0,1]
	v_pk_mul_f16 v49, 0xb9643bf7, v17 op_sel_hi:[1,0]
	v_pk_add_f16 v26, v8, v26 op_sel_hi:[0,1]
	v_pk_fma_f16 v32, 0xb461bacd, v13, v32 op_sel_hi:[1,0,1]
	v_pk_fma_f16 v25, 0xb8d22de8, v44, v25 op_sel_hi:[1,0,1]
	v_pk_add_f16 v27, v30, v37
	v_pk_fma_f16 v30, 0x39e92de8, v45, v49 op_sel_hi:[1,0,1] neg_lo:[0,0,1] neg_hi:[0,0,1]
	v_pk_add_f16 v10, v28, v10
	v_pk_add_f16 v26, v26, v32
	v_pk_fma_f16 v28, 0x3b7639e9, v15, v43 op_sel_hi:[1,0,1]
	v_pk_mul_f16 v12, 0xb1e1b836, v12 op_sel_hi:[1,0]
	v_pk_add_f16 v23, v25, v23
	v_pk_add_f16 v25, v27, v30
	v_pk_mul_f16 v14, 0x35c83b29, v14 op_sel_hi:[1,0]
	v_pk_add_f16 v26, v26, v28
	v_pk_fma_f16 v28, 0xbacd3722, v21, v40 op_sel_hi:[1,0,1]
	v_pk_fma_f16 v30, 0xbbddbacd, v11, v12 op_sel_hi:[1,0,1]
	v_pk_fma_f16 v11, 0xbbddbacd, v11, v12 op_sel_hi:[1,0,1] neg_lo:[0,0,1] neg_hi:[0,0,1]
	v_pk_mul_f16 v20, 0xb836bbf7, v20 op_sel_hi:[1,0]
	v_pk_mul_f16 v19, 0x39643a62, v19 op_sel_hi:[1,0]
	v_pk_add_f16 v12, v26, v28
	v_pk_add_f16 v26, v8, v30 op_sel_hi:[0,1]
	v_pk_fma_f16 v28, 0x3b763722, v13, v14 op_sel_hi:[1,0,1]
	v_pk_add_f16 v8, v8, v11 op_sel_hi:[0,1]
	v_pk_fma_f16 v11, 0x3b763722, v13, v14 op_sel_hi:[1,0,1] neg_lo:[0,0,1] neg_hi:[0,0,1]
	v_pk_fma_f16 v13, 0x2de8bbdd, v22, v48 op_sel_hi:[1,0,1]
	v_pk_mul_f16 v37, 0xb1e1b5c8, v16 op_sel_hi:[1,0]
	v_pk_add_f16 v14, v26, v28
	v_pk_fma_f16 v26, 0xbacd2de8, v15, v20 op_sel_hi:[1,0,1]
	v_pk_add_f16 v8, v8, v11
	v_pk_fma_f16 v11, 0xbacd2de8, v15, v20 op_sel_hi:[1,0,1] neg_lo:[0,0,1] neg_hi:[0,0,1]
	v_pk_add_f16 v12, v12, v13
	v_pk_mul_f16 v15, 0xba62b5c8, v18 op_sel_hi:[1,0]
	v_pk_add_f16 v13, v14, v26
	v_pk_fma_f16 v14, 0x39e9b8d2, v21, v19 op_sel_hi:[1,0,1]
	v_pk_add_f16 v8, v8, v11
	v_pk_fma_f16 v11, 0x39e9b8d2, v21, v19 op_sel_hi:[1,0,1] neg_lo:[0,0,1] neg_hi:[0,0,1]
	v_pk_mul_f16 v17, 0x3b29b1e1, v17 op_sel_hi:[1,0]
	v_pk_fma_f16 v27, 0xbbdd3b76, v44, v37 op_sel_hi:[1,0,1] neg_lo:[0,0,1] neg_hi:[0,0,1]
	v_pk_add_f16 v13, v13, v14
	v_pk_fma_f16 v14, 0xb8d23b76, v22, v15 op_sel_hi:[1,0,1]
	v_pk_add_f16 v8, v8, v11
	v_pk_fma_f16 v11, 0xb8d23b76, v22, v15 op_sel_hi:[1,0,1] neg_lo:[0,0,1] neg_hi:[0,0,1]
	v_pk_fma_f16 v18, 0x39e92de8, v45, v49 op_sel_hi:[1,0,1]
	v_pk_mul_f16 v15, 0xbbb23964, v16 op_sel_hi:[1,0]
	v_pk_add_f16 v13, v13, v14
	v_pk_fma_f16 v14, 0x3722bbdd, v45, v17 op_sel_hi:[1,0,1]
	v_pk_add_f16 v8, v8, v11
	v_pk_fma_f16 v11, 0x3722bbdd, v45, v17 op_sel_hi:[1,0,1] neg_lo:[0,0,1] neg_hi:[0,0,1]
	v_pk_add_f16 v25, v27, v25
	v_pk_mul_f16 v27, 0x3b29ba62, v39 op_sel_hi:[1,0]
	v_pk_add_f16 v12, v12, v18
	v_pk_fma_f16 v16, 0xbbdd3b76, v44, v37 op_sel_hi:[1,0,1]
	v_pk_add_f16 v13, v13, v14
	v_pk_fma_f16 v14, 0xb46139e9, v44, v15 op_sel_hi:[1,0,1]
	v_pk_mul_f16 v17, 0x3bf7bbb2, v39 op_sel_hi:[1,0]
	v_pk_add_f16 v8, v8, v11
	v_pk_fma_f16 v11, 0xb46139e9, v44, v15 op_sel_hi:[1,0,1] neg_lo:[0,0,1] neg_hi:[0,0,1]
	v_pk_fma_f16 v29, 0x39e9bacd, v42, v29 op_sel_hi:[1,0,1]
	v_pk_add_f16 v12, v16, v12
	v_pk_add_f16 v13, v14, v13
	v_pk_fma_f16 v14, 0x2de8b461, v42, v17 op_sel_hi:[1,0,1]
	v_pk_fma_f16 v15, 0x3722b8d2, v42, v27 op_sel_hi:[1,0,1]
	v_pk_add_f16 v8, v11, v8
	v_pk_fma_f16 v16, 0x2de8b461, v42, v17 op_sel_hi:[1,0,1] neg_lo:[0,0,1] neg_hi:[0,0,1]
	v_pk_fma_f16 v32, 0x3722b8d2, v42, v27 op_sel_hi:[1,0,1] neg_lo:[0,0,1] neg_hi:[0,0,1]
	v_pk_add_f16 v17, v29, v23
	v_pk_add_f16 v13, v14, v13
	;; [unrolled: 1-line block ×4, first 2 shown]
	v_mad_u32_u24 v8, v5, 34, 0
	v_pk_add_f16 v11, v32, v25
	v_alignbit_b32 v13, v13, v13, 16
	v_alignbit_b32 v14, v14, v14, 16
	;; [unrolled: 1-line block ×4, first 2 shown]
	ds_store_b16 v8, v6
	ds_store_b128 v8, v[9:12] offset:2
	ds_store_b128 v8, v[13:16] offset:18
.LBB0_19:
	s_wait_alu 0xfffe
	s_or_b32 exec_lo, exec_lo, s1
	v_and_b32_e32 v11, 0xff, v7
	v_add_nc_u32_e32 v6, 0x66, v7
	v_add_nc_u32_e32 v8, 0x99, v7
	;; [unrolled: 1-line block ×3, first 2 shown]
	v_and_b32_e32 v19, 0xff, v5
	v_mul_lo_u16 v15, 0xf1, v11
	v_and_b32_e32 v16, 0xff, v6
	v_and_b32_e32 v20, 0xff, v8
	v_add_nc_u32_e32 v10, 0xff, v7
	v_mul_lo_u16 v19, 0xf1, v19
	v_lshrrev_b16 v17, 12, v15
	v_and_b32_e32 v21, 0xff, v9
	v_mul_lo_u16 v22, 0xf1, v16
	v_mul_lo_u16 v20, 0xf1, v20
	v_lshrrev_b16 v28, 12, v19
	v_mul_lo_u16 v18, v17, 17
	v_add_nc_u32_e32 v11, 0x132, v7
	v_lshrrev_b16 v26, 12, v22
	v_lshrrev_b16 v24, 12, v20
	v_and_b32_e32 v20, 0xffff, v10
	v_sub_nc_u16 v18, v7, v18
	v_add_nc_u32_e32 v12, 0x165, v7
	v_mul_lo_u16 v22, v26, 17
	v_mul_lo_u16 v23, v24, 17
	v_add_nc_u32_e32 v13, 0x198, v7
	v_and_b32_e32 v48, 0xff, v18
	v_mul_lo_u16 v18, 0xf1, v21
	v_mul_lo_u16 v21, v28, 17
	v_add_nc_u32_e32 v14, 0x1cb, v7
	global_wb scope:SCOPE_SE
	s_wait_dscnt 0x0
	v_lshlrev_b32_e32 v19, 3, v48
	v_lshrrev_b16 v27, 12, v18
	v_mul_u32_u24_e32 v18, 0xf0f1, v20
	v_sub_nc_u16 v20, v5, v21
	v_sub_nc_u16 v21, v6, v22
	;; [unrolled: 1-line block ×3, first 2 shown]
	v_mul_lo_u16 v23, v27, 17
	v_lshrrev_b32_e32 v25, 20, v18
	v_and_b32_e32 v49, 0xff, v20
	v_and_b32_e32 v50, 0xff, v21
	;; [unrolled: 1-line block ×3, first 2 shown]
	v_sub_nc_u16 v18, v9, v23
	v_mul_lo_u16 v20, v25, 17
	v_and_b32_e32 v23, 0xffff, v11
	v_lshlrev_b32_e32 v21, 3, v49
	v_lshlrev_b32_e32 v22, 3, v50
	v_and_b32_e32 v52, 0xff, v18
	v_sub_nc_u16 v18, v10, v20
	v_and_b32_e32 v20, 0xffff, v12
	v_mul_u32_u24_e32 v23, 0xf0f1, v23
	v_lshlrev_b32_e32 v29, 3, v51
	s_barrier_signal -1
	s_barrier_wait -1
	global_inv scope:SCOPE_SE
	s_clause 0x3
	global_load_b64 v[83:84], v19, s[8:9]
	global_load_b64 v[85:86], v21, s[8:9]
	;; [unrolled: 1-line block ×4, first 2 shown]
	v_mul_u32_u24_e32 v19, 0xf0f1, v20
	v_add_nc_u32_e32 v15, 0x1fe, v7
	v_and_b32_e32 v53, 0xffff, v18
	v_and_b32_e32 v18, 0xffff, v13
	v_lshrrev_b32_e32 v37, 20, v23
	v_lshrrev_b32_e32 v42, 20, v19
	v_and_b32_e32 v19, 0xffff, v14
	v_and_b32_e32 v23, 0xffff, v15
	v_mul_u32_u24_e32 v18, 0xf0f1, v18
	v_mul_lo_u16 v22, v37, 17
	v_mul_lo_u16 v29, v42, 17
	v_mul_u32_u24_e32 v19, 0xf0f1, v19
	v_lshlrev_b32_e32 v20, 3, v52
	v_lshrrev_b32_e32 v45, 20, v18
	v_sub_nc_u16 v18, v11, v22
	v_mul_u32_u24_e32 v22, 0xf0f1, v23
	v_lshrrev_b32_e32 v43, 20, v19
	v_sub_nc_u16 v23, v12, v29
	v_mul_lo_u16 v19, v45, 17
	v_and_b32_e32 v105, 0xffff, v18
	v_lshrrev_b32_e32 v44, 20, v22
	v_mul_lo_u16 v18, v43, 17
	v_and_b32_e32 v106, 0xffff, v23
	v_sub_nc_u16 v19, v13, v19
	v_lshlrev_b32_e32 v21, 3, v53
	v_mul_lo_u16 v23, v44, 17
	v_sub_nc_u16 v18, v14, v18
	v_lshlrev_b32_e32 v22, 3, v105
	v_and_b32_e32 v107, 0xffff, v19
	v_lshlrev_b32_e32 v29, 3, v106
	v_sub_nc_u16 v19, v15, v23
	v_and_b32_e32 v108, 0xffff, v18
	s_clause 0x1
	global_load_b64 v[91:92], v20, s[8:9]
	global_load_b64 v[93:94], v21, s[8:9]
	v_lshlrev_b32_e32 v18, 3, v107
	v_and_b32_e32 v109, 0xffff, v19
	v_lshlrev_b32_e32 v19, 3, v108
	s_clause 0x1
	global_load_b64 v[95:96], v22, s[8:9]
	global_load_b64 v[97:98], v29, s[8:9]
	v_lshlrev_b32_e32 v82, 1, v48
	global_load_b64 v[99:100], v18, s[8:9]
	v_lshlrev_b32_e32 v18, 3, v109
	s_clause 0x1
	global_load_b64 v[101:102], v19, s[8:9]
	global_load_b64 v[103:104], v18, s[8:9]
	ds_load_u16 v110, v0 offset:1326
	ds_load_u16 v111, v0 offset:1428
	ds_load_u16 v112, v0 offset:1530
	ds_load_u16 v40, v0
	ds_load_u16 v39, v0 offset:102
	ds_load_u16 v32, v0 offset:204
	;; [unrolled: 1-line block ×29, first 2 shown]
	v_lshlrev_b32_e32 v56, 1, v50
	v_lshlrev_b32_e32 v50, 1, v107
	;; [unrolled: 1-line block ×9, first 2 shown]
	v_and_b32_e32 v17, 0xffff, v17
	v_and_b32_e32 v26, 0xffff, v26
	;; [unrolled: 1-line block ×4, first 2 shown]
	v_lshlrev_b32_e32 v53, 1, v53
	v_mul_u32_u24_e32 v17, 0x66, v17
	global_wb scope:SCOPE_SE
	s_wait_loadcnt_dscnt 0x0
	s_barrier_signal -1
	v_mul_u32_u24_e32 v28, 0x66, v28
	s_barrier_wait -1
	v_add3_u32 v82, 0, v17, v82
	v_mul_u32_u24_e32 v17, 0x66, v26
	global_inv scope:SCOPE_SE
	v_mul_u32_u24_e32 v24, 0x66, v24
	v_mul_lo_u16 v16, 0xa1, v16
	v_add3_u32 v81, 0, v28, v81
	v_add3_u32 v26, 0, v17, v56
	v_and_b32_e32 v17, 0xffff, v27
	v_add3_u32 v24, 0, v24, v55
	v_lshrrev_b16 v16, 13, v16
	v_mul_u32_u24_e32 v27, 0x66, v45
	s_delay_alu instid0(VALU_DEP_4) | instskip(NEXT) | instid1(VALU_DEP_3)
	v_mul_u32_u24_e32 v17, 0x66, v17
	v_mul_lo_u16 v16, v16, 51
	s_delay_alu instid0(VALU_DEP_1) | instskip(NEXT) | instid1(VALU_DEP_1)
	v_sub_nc_u16 v16, v6, v16
	v_and_b32_e32 v16, 0xff, v16
	v_lshrrev_b32_e32 v105, 16, v83
	v_lshrrev_b32_e32 v107, 16, v85
	;; [unrolled: 1-line block ×6, first 2 shown]
	v_mul_f16_e64 v133, v126, v107
	v_mul_f16_e32 v107, v78, v107
	v_mul_f16_e64 v134, v128, v108
	v_mul_f16_e32 v108, v76, v108
	v_mul_f16_e32 v109, v127, v105
	v_fmac_f16_e64 v133, v78, v85
	v_fma_f16 v85, v126, v85, -v107
	v_fmac_f16_e64 v134, v76, v86
	v_fma_f16 v86, v128, v86, -v108
	v_mul_f16_e64 v108, v110, v135
	v_mul_f16_e64 v126, v75, v135
	v_mul_f16_e32 v105, v80, v105
	v_lshrrev_b32_e32 v137, 16, v89
	v_mul_f16_e64 v128, v118, v136
	v_mul_f16_e64 v132, v129, v106
	v_lshrrev_b32_e32 v138, 16, v90
	v_fmac_f16_e32 v108, v75, v87
	v_fma_f16 v87, v110, v87, -v126
	v_mul_f16_e32 v106, v79, v106
	v_fmac_f16_e32 v109, v80, v83
	v_fma_f16 v83, v127, v83, -v105
	v_mul_f16_e64 v135, v77, v136
	v_mul_f16_e64 v136, v111, v137
	;; [unrolled: 1-line block ×3, first 2 shown]
	v_fmac_f16_e64 v128, v77, v88
	v_fmac_f16_e64 v132, v79, v84
	v_mul_f16_e64 v75, v119, v138
	v_fma_f16 v84, v129, v84, -v106
	v_mul_f16_e64 v138, v74, v138
	v_fmac_f16_e64 v136, v73, v89
	v_lshrrev_b32_e32 v139, 16, v91
	v_lshrrev_b32_e32 v140, 16, v92
	;; [unrolled: 1-line block ×5, first 2 shown]
	v_mul_f16_e64 v110, v112, v139
	v_lshrrev_b32_e32 v105, 16, v97
	v_mul_f16_e64 v77, v120, v140
	v_lshrrev_b32_e32 v79, 16, v98
	v_mul_f16_e64 v126, v61, v139
	v_fmac_f16_e32 v110, v61, v91
	v_lshrrev_b32_e32 v78, 16, v102
	v_lshrrev_b32_e32 v76, 16, v104
	;; [unrolled: 1-line block ×5, first 2 shown]
	v_mul_f16_e32 v61, v125, v78
	v_mul_f16_e32 v78, v63, v78
	v_lshrrev_b32_e32 v129, 16, v101
	v_mul_f16_e64 v139, v72, v140
	v_mul_f16_e32 v73, v122, v80
	v_mul_f16_e32 v80, v70, v80
	v_fma_f16 v89, v111, v89, -v137
	v_mul_f16_e32 v111, v115, v105
	v_mul_f16_e32 v105, v62, v105
	v_fmac_f16_e32 v77, v72, v92
	v_mul_f16_e64 v72, v131, v76
	v_mul_f16_e32 v76, v64, v76
	v_fma_f16 v88, v118, v88, -v135
	v_mul_f16_e64 v118, v113, v141
	v_mul_f16_e64 v135, v68, v141
	;; [unrolled: 1-line block ×4, first 2 shown]
	v_fmac_f16_e32 v75, v74, v90
	v_mul_f16_e32 v74, v123, v79
	v_mul_f16_e32 v79, v69, v79
	v_fmac_f16_e32 v61, v63, v102
	v_fma_f16 v63, v125, v102, -v78
	v_add_f16_e64 v78, v109, v132
	v_lshrrev_b32_e32 v107, 16, v103
	v_mul_f16_e64 v142, v114, v143
	v_mul_f16_e64 v143, v66, v143
	v_fma_f16 v90, v119, v90, -v138
	v_mul_f16_e32 v119, v116, v106
	v_mul_f16_e32 v106, v60, v106
	v_mul_f16_e64 v137, v124, v127
	v_mul_f16_e32 v127, v67, v127
	v_mul_f16_e64 v138, v117, v129
	v_mul_f16_e64 v129, v59, v129
	v_fmac_f16_e32 v73, v70, v96
	v_fma_f16 v70, v122, v96, -v80
	v_fmac_f16_e32 v111, v62, v97
	v_fma_f16 v62, v115, v97, -v105
	;; [unrolled: 2-line block ×3, first 2 shown]
	v_add_f16_e32 v76, v58, v109
	v_sub_f16_e32 v96, v85, v86
	v_add_f16_e32 v97, v39, v85
	v_add_f16_e32 v85, v85, v86
	v_fmac_f16_e32 v118, v68, v93
	v_fmac_f16_e64 v140, v71, v94
	v_fma_f16 v71, v121, v94, -v141
	v_fmac_f16_e32 v74, v69, v98
	v_fma_f16 v69, v123, v98, -v79
	v_sub_f16_e32 v79, v83, v84
	v_add_f16_e32 v80, v40, v83
	v_add_f16_e64 v94, v57, v133
	v_fmac_f16_e32 v58, -0.5, v78
	v_fma_f16 v91, v112, v91, -v126
	v_mul_f16_e64 v112, v130, v107
	v_mul_f16_e32 v107, v65, v107
	v_fmac_f16_e64 v142, v66, v95
	v_fma_f16 v66, v114, v95, -v143
	v_fmac_f16_e32 v119, v60, v99
	v_fma_f16 v60, v116, v99, -v106
	v_fmac_f16_e64 v137, v67, v100
	v_fma_f16 v67, v124, v100, -v127
	v_fmac_f16_e64 v138, v59, v101
	v_fma_f16 v59, v117, v101, -v129
	v_add_f16_e32 v83, v83, v84
	v_add_f16_e64 v95, v133, v134
	v_add_f16_e64 v76, v76, v132
	v_fmac_f16_e32 v39, -0.5, v85
	v_add_f16_e64 v85, v108, v128
	v_sub_f16_e32 v100, v89, v90
	v_add_f16_e32 v101, v30, v89
	v_add_f16_e32 v89, v89, v90
	v_fma_f16 v92, v120, v92, -v139
	v_fma_f16 v68, v113, v93, -v135
	v_sub_f16_e64 v93, v109, v132
	v_sub_f16_e64 v98, v133, v134
	v_add_f16_e32 v78, v80, v84
	v_add_f16_e64 v80, v94, v134
	v_add_f16_e64 v99, v136, v75
	v_add_f16_e32 v104, v110, v77
	v_add_f16_e64 v109, v118, v140
	v_fma_f16 v134, 0xbaee, v79, v58
	v_fmac_f16_e32 v58, 0x3aee, v79
	v_fmac_f16_e32 v112, v65, v103
	v_fma_f16 v65, v130, v103, -v107
	v_fmac_f16_e32 v40, -0.5, v83
	v_fmac_f16_e32 v57, -0.5, v95
	v_add_f16_e32 v83, v97, v86
	v_add_f16_e32 v84, v47, v108
	v_sub_f16_e32 v86, v87, v88
	v_sub_f16_e64 v95, v108, v128
	v_add_f16_e64 v97, v46, v136
	v_sub_f16_e64 v102, v136, v75
	v_add_f16_e32 v103, v41, v110
	v_add_f16_e32 v108, v38, v118
	v_sub_f16_e32 v127, v60, v67
	v_add_f16_e64 v129, v19, v60
	v_add_f16_e32 v60, v60, v67
	v_add_f16_e64 v130, v33, v138
	v_add_f16_e64 v133, v59, v63
	v_fmac_f16_e32 v47, -0.5, v85
	v_fmac_f16_e32 v30, -0.5, v89
	ds_store_b16 v82, v76
	ds_store_b16 v82, v134 offset:34
	ds_store_b16 v82, v58 offset:68
	v_add3_u32 v58, 0, v17, v54
	v_mul_u32_u24_e32 v17, 0x66, v25
	v_add_f16_e32 v94, v32, v87
	v_add_f16_e32 v87, v87, v88
	v_sub_f16_e32 v105, v91, v92
	v_add_f16_e32 v106, v29, v91
	v_sub_f16_e32 v107, v110, v77
	v_sub_f16_e32 v110, v68, v71
	v_sub_f16_e64 v114, v118, v140
	v_add_f16_e64 v116, v142, v73
	v_sub_f16_e32 v117, v66, v70
	v_add_f16_e32 v118, v21, v66
	v_add_f16_e32 v66, v66, v70
	;; [unrolled: 1-line block ×3, first 2 shown]
	v_fmac_f16_e32 v46, -0.5, v99
	v_fmac_f16_e32 v41, -0.5, v104
	;; [unrolled: 1-line block ×3, first 2 shown]
	v_sub_f16_e64 v132, v59, v63
	v_add_f16_e32 v59, v18, v59
	v_add_f16_e32 v113, v22, v68
	;; [unrolled: 1-line block ×3, first 2 shown]
	v_add_f16_e64 v115, v35, v142
	v_add_f16_e64 v131, v138, v61
	;; [unrolled: 1-line block ×3, first 2 shown]
	v_add_f16_e32 v75, v97, v75
	v_add_f16_e32 v77, v103, v77
	v_add_f16_e64 v89, v108, v140
	v_fmac_f16_e32 v19, -0.5, v60
	v_fmamk_f16 v60, v86, 0xbaee, v47
	v_fmac_f16_e32 v47, 0x3aee, v86
	v_fmamk_f16 v86, v102, 0x3aee, v30
	v_fmac_f16_e32 v30, 0xbaee, v102
	v_add_f16_e64 v102, v130, v61
	v_fmac_f16_e64 v18, -0.5, v133
	v_sub_f16_e64 v61, v138, v61
	v_mul_u32_u24_e32 v25, 0x66, v37
	v_add3_u32 v37, 0, v17, v53
	v_mul_u32_u24_e32 v17, 0x66, v42
	v_add_f16_e32 v91, v91, v92
	v_add_f16_e32 v122, v111, v74
	v_sub_f16_e32 v123, v62, v69
	v_add_f16_e32 v124, v20, v62
	v_add_f16_e32 v62, v62, v69
	v_sub_f16_e32 v111, v111, v74
	v_add_f16_e64 v126, v119, v137
	v_fmamk_f16 v79, v93, 0x3aee, v40
	v_fmac_f16_e32 v40, 0xbaee, v93
	v_fmamk_f16 v93, v96, 0xbaee, v57
	v_add_f16_e32 v85, v94, v88
	v_fmac_f16_e32 v32, -0.5, v87
	v_add_f16_e32 v87, v101, v90
	v_add_f16_e32 v88, v106, v92
	v_fmac_f16_e32 v35, -0.5, v116
	v_fmac_f16_e32 v21, -0.5, v66
	v_add_f16_e32 v66, v121, v74
	v_fmamk_f16 v74, v100, 0xbaee, v46
	v_fmamk_f16 v90, v105, 0xbaee, v41
	;; [unrolled: 1-line block ×3, first 2 shown]
	v_fmac_f16_e32 v57, 0x3aee, v96
	v_fmac_f16_e32 v46, 0x3aee, v100
	;; [unrolled: 1-line block ×4, first 2 shown]
	v_add_f16_e32 v63, v59, v63
	v_add_f16_e32 v59, v112, v72
	;; [unrolled: 1-line block ×3, first 2 shown]
	v_fmac_f16_e32 v22, -0.5, v68
	v_add_f16_e32 v68, v115, v73
	v_fmamk_f16 v104, v61, 0x3aee, v18
	v_fmac_f16_e32 v18, 0xbaee, v61
	v_add_f16_e32 v61, v65, v64
	ds_store_b16 v81, v80
	ds_store_b16 v81, v93 offset:34
	ds_store_b16 v81, v57 offset:68
	ds_store_b16 v26, v84
	ds_store_b16 v26, v60 offset:34
	ds_store_b16 v26, v47 offset:68
	;; [unrolled: 3-line block ×4, first 2 shown]
	v_add3_u32 v25, 0, v25, v52
	ds_store_b16 v37, v89
	ds_store_b16 v37, v92 offset:34
	ds_store_b16 v37, v38 offset:68
	v_add3_u32 v38, 0, v17, v51
	v_mul_u32_u24_e32 v17, 0x66, v43
	v_sub_f16_e64 v120, v142, v73
	v_fmac_f16_e32 v34, -0.5, v122
	v_fmac_f16_e32 v20, -0.5, v62
	;; [unrolled: 1-line block ×3, first 2 shown]
	v_fmamk_f16 v73, v95, 0x3aee, v32
	v_fmac_f16_e32 v32, 0xbaee, v95
	v_fmamk_f16 v95, v117, 0xbaee, v35
	v_fmac_f16_e32 v35, 0x3aee, v117
	v_sub_f16_e64 v119, v119, v137
	v_fmac_f16_e64 v33, -0.5, v131
	v_add_f16_e32 v105, v36, v112
	v_fmac_f16_e32 v36, -0.5, v59
	v_sub_f16_e32 v59, v65, v64
	v_fmac_f16_e32 v29, -0.5, v91
	v_add_f16_e32 v71, v113, v71
	v_add_f16_e32 v69, v124, v69
	v_add_f16_e64 v62, v125, v137
	v_add_f16_e32 v65, v23, v65
	v_fmac_f16_e32 v23, -0.5, v61
	v_sub_f16_e32 v61, v112, v72
	ds_store_b16 v25, v68
	ds_store_b16 v25, v95 offset:34
	ds_store_b16 v25, v35 offset:68
	v_add3_u32 v35, 0, v27, v50
	v_mul_u32_u24_e32 v27, 0x66, v44
	v_add3_u32 v42, 0, v17, v48
	v_fmamk_f16 v96, v98, 0x3aee, v39
	v_fmac_f16_e32 v39, 0xbaee, v98
	v_fmamk_f16 v94, v114, 0x3aee, v22
	v_fmamk_f16 v98, v123, 0xbaee, v34
	;; [unrolled: 1-line block ×4, first 2 shown]
	v_fmac_f16_e32 v22, 0xbaee, v114
	v_fmac_f16_e32 v34, 0x3aee, v123
	v_fmac_f16_e32 v20, 0xbaee, v111
	v_fmac_f16_e32 v31, 0x3aee, v127
	v_add_f16_e32 v70, v118, v70
	v_add_f16_e64 v67, v129, v67
	v_fmamk_f16 v97, v120, 0x3aee, v21
	v_fmamk_f16 v101, v119, 0x3aee, v19
	v_fma_f16 v103, 0xbaee, v132, v33
	v_fmac_f16_e64 v33, 0x3aee, v132
	v_add_f16_e32 v105, v105, v72
	v_fmamk_f16 v72, v59, 0xbaee, v36
	v_fmac_f16_e32 v36, 0x3aee, v59
	v_fmamk_f16 v91, v107, 0x3aee, v29
	v_fmac_f16_e32 v29, 0xbaee, v107
	v_fmac_f16_e32 v21, 0xbaee, v120
	;; [unrolled: 1-line block ×3, first 2 shown]
	v_add_f16_e32 v64, v65, v64
	v_fmamk_f16 v65, v61, 0x3aee, v23
	v_fmac_f16_e32 v23, 0xbaee, v61
	ds_store_b16 v38, v66
	ds_store_b16 v38, v98 offset:34
	ds_store_b16 v38, v34 offset:68
	v_add3_u32 v49, 0, v27, v49
	ds_store_b16 v35, v62
	ds_store_b16 v35, v100 offset:34
	ds_store_b16 v35, v31 offset:68
	ds_store_b16 v42, v102
	ds_store_b16 v42, v103 offset:34
	ds_store_b16 v42, v33 offset:68
	;; [unrolled: 3-line block ×3, first 2 shown]
	global_wb scope:SCOPE_SE
	s_wait_dscnt 0x0
	s_barrier_signal -1
	s_barrier_wait -1
	global_inv scope:SCOPE_SE
	ds_load_u16 v36, v0
	ds_load_u16 v34, v0 offset:102
	ds_load_u16 v43, v0 offset:1632
	;; [unrolled: 1-line block ×32, first 2 shown]
	global_wb scope:SCOPE_SE
	s_wait_dscnt 0x0
	s_barrier_signal -1
	s_barrier_wait -1
	global_inv scope:SCOPE_SE
	ds_store_b16 v82, v78
	ds_store_b16 v82, v79 offset:34
	ds_store_b16 v82, v40 offset:68
	ds_store_b16 v81, v83
	ds_store_b16 v81, v96 offset:34
	ds_store_b16 v81, v39 offset:68
	ds_store_b16 v26, v85
	ds_store_b16 v26, v73 offset:34
	ds_store_b16 v26, v32 offset:68
	ds_store_b16 v24, v87
	ds_store_b16 v24, v86 offset:34
	ds_store_b16 v24, v30 offset:68
	ds_store_b16 v58, v88
	ds_store_b16 v58, v91 offset:34
	ds_store_b16 v58, v29 offset:68
	ds_store_b16 v37, v71
	ds_store_b16 v37, v94 offset:34
	ds_store_b16 v37, v22 offset:68
	ds_store_b16 v25, v70
	ds_store_b16 v25, v97 offset:34
	ds_store_b16 v25, v21 offset:68
	ds_store_b16 v38, v69
	ds_store_b16 v38, v99 offset:34
	ds_store_b16 v38, v20 offset:68
	ds_store_b16 v35, v67
	ds_store_b16 v35, v101 offset:34
	ds_store_b16 v35, v19 offset:68
	ds_store_b16 v42, v63
	ds_store_b16 v42, v104 offset:34
	ds_store_b16 v42, v18 offset:68
	v_mul_u32_u24_e32 v18, 10, v7
	v_mul_u32_u24_e32 v19, 10, v16
	ds_store_b16 v49, v64
	ds_store_b16 v49, v65 offset:34
	ds_store_b16 v49, v23 offset:68
	global_wb scope:SCOPE_SE
	s_wait_dscnt 0x0
	s_barrier_signal -1
	v_lshlrev_b32_e32 v18, 2, v18
	s_barrier_wait -1
	global_inv scope:SCOPE_SE
	s_clause 0x1
	global_load_b128 v[79:82], v18, s[8:9] offset:136
	global_load_b128 v[83:86], v18, s[8:9] offset:152
	v_lshlrev_b32_e32 v19, 2, v19
	s_clause 0x3
	global_load_b64 v[21:22], v18, s[8:9] offset:168
	global_load_b128 v[87:90], v19, s[8:9] offset:136
	global_load_b128 v[91:94], v19, s[8:9] offset:152
	global_load_b64 v[62:63], v19, s[8:9] offset:168
	ds_load_u16 v64, v0
	ds_load_u16 v70, v0 offset:102
	ds_load_u16 v18, v0 offset:1632
	;; [unrolled: 1-line block ×32, first 2 shown]
	global_wb scope:SCOPE_SE
	s_wait_loadcnt_dscnt 0x0
	s_barrier_signal -1
	s_barrier_wait -1
	global_inv scope:SCOPE_SE
	v_lshrrev_b32_e32 v40, 16, v79
	v_lshrrev_b32_e32 v42, 16, v80
	;; [unrolled: 1-line block ×6, first 2 shown]
	v_mul_f16_e64 v130, v20, v40
	v_mul_f16_e32 v66, v60, v40
	v_lshrrev_b32_e32 v58, 16, v81
	v_lshrrev_b32_e32 v127, 16, v94
	v_mul_f16_e64 v131, v19, v42
	v_mul_f16_e64 v132, v33, v42
	;; [unrolled: 1-line block ×3, first 2 shown]
	v_mul_f16_e32 v38, v35, v78
	v_mul_f16_e64 v137, v95, v78
	v_mul_f16_e64 v139, v77, v116
	;; [unrolled: 1-line block ×4, first 2 shown]
	v_mul_f16_e32 v51, v73, v40
	v_mul_f16_e64 v146, v52, v40
	v_fmac_f16_e64 v130, v60, v79
	v_mul_f16_e32 v75, v67, v42
	v_mul_f16_e64 v147, v54, v42
	v_fma_f16 v148, v20, v79, -v66
	v_mul_f16_e64 v151, v43, v69
	v_mul_f16_e32 v60, v108, v78
	v_mul_f16_e64 v152, v61, v78
	v_mul_f16_e32 v78, v113, v118
	v_mul_f16_e32 v118, v100, v118
	v_lshrrev_b32_e32 v65, 16, v82
	v_mul_f16_e64 v133, v29, v58
	v_mul_f16_e64 v134, v76, v58
	;; [unrolled: 1-line block ×3, first 2 shown]
	v_mul_f16_e32 v71, v103, v58
	v_mul_f16_e64 v149, v59, v58
	v_fmac_f16_e64 v131, v33, v80
	v_fma_f16 v132, v19, v80, -v132
	v_mul_f16_e32 v58, v18, v69
	v_fma_f16 v40, v24, v83, -v136
	v_fma_f16 v136, v30, v85, -v139
	v_fmac_f16_e64 v142, v102, v21
	v_mul_f16_e32 v30, v114, v127
	v_mul_f16_e32 v102, v48, v127
	v_fma_f16 v127, v49, v21, -v143
	v_fmac_f16_e32 v51, v52, v79
	v_fma_f16 v52, v73, v79, -v146
	v_fmac_f16_e32 v75, v54, v80
	v_fma_f16 v79, v67, v80, -v147
	v_fma_f16 v67, v18, v83, -v151
	v_fmac_f16_e32 v78, v100, v21
	v_fma_f16 v80, v113, v21, -v118
	v_add_f16_e64 v18, v36, v130
	v_add_f16_e64 v21, v64, v148
	v_mul_f16_e32 v39, v26, v65
	v_mul_f16_e64 v135, v74, v65
	v_fmac_f16_e64 v133, v76, v81
	v_fma_f16 v134, v29, v81, -v134
	v_add_f16_e64 v18, v18, v131
	v_add_f16_e64 v21, v21, v132
	v_mul_f16_e32 v37, v24, v69
	v_fmac_f16_e32 v39, v74, v82
	v_fma_f16 v135, v26, v82, -v135
	v_add_f16_e64 v18, v18, v133
	v_add_f16_e64 v21, v21, v134
	v_lshrrev_b32_e32 v121, 16, v88
	v_fmac_f16_e32 v37, v72, v83
	v_lshrrev_b32_e32 v117, 16, v86
	v_add_f16_e32 v18, v18, v39
	v_add_f16_e64 v21, v21, v135
	v_fmac_f16_e32 v38, v95, v84
	v_mul_f16_e32 v33, v104, v121
	v_mul_f16_e32 v95, v53, v121
	v_fma_f16 v121, v35, v84, -v137
	v_add_f16_e32 v18, v18, v37
	v_add_f16_e32 v21, v21, v40
	v_lshrrev_b32_e32 v119, 16, v22
	v_mul_f16_e64 v140, v23, v117
	v_mul_f16_e64 v141, v68, v117
	v_fmac_f16_e64 v138, v77, v85
	v_add_f16_e32 v18, v18, v38
	v_add_f16_e32 v21, v21, v121
	v_lshrrev_b32_e32 v125, 16, v92
	v_lshrrev_b32_e32 v129, 16, v63
	v_mul_f16_e64 v145, v98, v119
	v_fmac_f16_e64 v140, v68, v86
	v_fma_f16 v137, v23, v86, -v141
	v_add_f16_e64 v18, v18, v138
	v_add_f16_e64 v21, v21, v136
	v_lshrrev_b32_e32 v120, 16, v87
	v_lshrrev_b32_e32 v122, 16, v89
	;; [unrolled: 1-line block ×4, first 2 shown]
	v_mul_f16_e64 v144, v111, v119
	v_mul_f16_e32 v66, v99, v65
	v_mul_f16_e64 v150, v55, v65
	v_mul_f16_e32 v65, v110, v119
	v_mul_f16_e32 v20, v107, v125
	v_mul_f16_e64 v49, v115, v129
	v_fma_f16 v111, v111, v22, -v145
	v_add_f16_e64 v18, v18, v140
	v_add_f16_e64 v21, v21, v137
	v_lshrrev_b32_e32 v123, 16, v90
	v_lshrrev_b32_e32 v128, 16, v62
	v_mul_f16_e32 v69, v106, v116
	v_mul_f16_e32 v119, v57, v119
	;; [unrolled: 1-line block ×10, first 2 shown]
	v_fmac_f16_e64 v144, v98, v22
	v_mul_f16_e64 v98, v45, v129
	v_fmac_f16_e32 v65, v57, v22
	v_fmac_f16_e32 v20, v46, v92
	;; [unrolled: 1-line block ×3, first 2 shown]
	v_sub_f16_e64 v45, v148, v111
	v_add_f16_e64 v46, v148, v111
	v_add_f16_e64 v18, v18, v142
	v_add_f16_e32 v57, v21, v127
	v_mul_f16_e32 v116, v56, v116
	v_mul_f16_e32 v74, v32, v117
	;; [unrolled: 1-line block ×6, first 2 shown]
	v_mul_f16_e64 v35, v112, v128
	v_mul_f16_e64 v128, v44, v128
	v_fmac_f16_e32 v71, v59, v81
	v_fma_f16 v76, v103, v81, -v149
	v_fmac_f16_e32 v58, v43, v83
	v_fmac_f16_e32 v60, v61, v84
	v_fma_f16 v68, v108, v84, -v152
	v_fmac_f16_e32 v69, v56, v85
	v_fma_f16 v81, v110, v22, -v119
	v_fmac_f16_e32 v42, v41, v87
	v_fma_f16 v56, v96, v87, -v120
	v_fmac_f16_e32 v33, v53, v88
	v_fmac_f16_e32 v29, v47, v89
	;; [unrolled: 1-line block ×3, first 2 shown]
	v_fma_f16 v22, v109, v91, -v124
	v_fmac_f16_e32 v26, v28, v93
	v_fma_f16 v28, v105, v93, -v126
	v_fmac_f16_e32 v30, v48, v94
	v_fma_f16 v59, v115, v63, -v98
	v_add_f16_e64 v43, v130, v144
	v_sub_f16_e64 v47, v130, v144
	v_mul_f16_e32 v48, 0xb853, v45
	v_mul_f16_e32 v50, 0x3abb, v46
	;; [unrolled: 1-line block ×3, first 2 shown]
	v_add_f16_e64 v21, v18, v144
	v_add_f16_e32 v18, v57, v111
	v_mul_f16_e32 v57, 0x36a6, v46
	v_mul_f16_e32 v63, 0xbbeb, v45
	;; [unrolled: 1-line block ×7, first 2 shown]
	v_sub_f16_e64 v91, v132, v127
	v_add_f16_e64 v93, v132, v127
	v_fmac_f16_e32 v66, v55, v82
	v_fma_f16 v72, v99, v82, -v150
	v_fma_f16 v73, v106, v85, -v116
	v_fmac_f16_e32 v74, v31, v86
	v_fma_f16 v77, v32, v86, -v117
	v_fma_f16 v41, v104, v88, -v95
	v_fma_f16 v31, v101, v89, -v122
	v_fmac_f16_e32 v24, v27, v90
	v_fma_f16 v27, v97, v90, -v123
	;; [unrolled: 4-line block ×3, first 2 shown]
	v_fmamk_f16 v54, v43, 0x3abb, v48
	v_fmamk_f16 v55, v47, 0x3853, v50
	v_fma_f16 v48, v43, 0x3abb, -v48
	v_fmac_f16_e32 v50, 0xb853, v47
	v_fmamk_f16 v61, v43, 0x36a6, v53
	v_fmamk_f16 v62, v47, 0x3b47, v57
	v_fma_f16 v53, v43, 0x36a6, -v53
	v_fmac_f16_e32 v57, 0xbb47, v47
	;; [unrolled: 4-line block ×4, first 2 shown]
	v_fmamk_f16 v89, v43, 0xbbad, v45
	v_fmamk_f16 v90, v47, 0x3482, v46
	v_add_f16_e64 v92, v131, v142
	v_mul_f16_e32 v94, 0xbb47, v91
	v_fma_f16 v43, v43, 0xbbad, -v45
	v_fmac_f16_e32 v46, 0xb482, v47
	v_sub_f16_e64 v45, v131, v142
	v_mul_f16_e32 v47, 0x36a6, v93
	v_add_f16_e32 v54, v36, v54
	v_add_f16_e32 v55, v64, v55
	v_add_f16_e32 v48, v36, v48
	v_add_f16_e32 v50, v64, v50
	v_add_f16_e32 v61, v36, v61
	v_add_f16_e32 v62, v64, v62
	v_add_f16_e32 v53, v36, v53
	v_add_f16_e32 v57, v64, v57
	v_add_f16_e32 v82, v36, v82
	v_add_f16_e32 v85, v64, v85
	v_add_f16_e32 v63, v36, v63
	v_add_f16_e32 v83, v64, v83
	v_add_f16_e32 v86, v36, v86
	v_add_f16_e32 v88, v64, v88
	v_add_f16_e32 v84, v36, v84
	v_add_f16_e32 v87, v64, v87
	v_add_f16_e32 v89, v36, v89
	v_add_f16_e32 v90, v64, v90
	v_fmamk_f16 v95, v92, 0x36a6, v94
	v_add_f16_e32 v36, v36, v43
	v_add_f16_e32 v43, v64, v46
	v_mul_f16_e32 v46, 0xba0c, v91
	v_fmamk_f16 v64, v45, 0x3b47, v47
	v_add_f16_e32 v54, v95, v54
	v_fma_f16 v94, v92, 0x36a6, -v94
	v_fmac_f16_e32 v47, 0xbb47, v45
	v_fmamk_f16 v95, v92, 0xb93d, v46
	v_add_f16_e32 v55, v64, v55
	v_mul_f16_e32 v64, 0xb93d, v93
	v_add_f16_e32 v48, v94, v48
	v_add_f16_e32 v47, v47, v50
	;; [unrolled: 1-line block ×3, first 2 shown]
	v_mul_f16_e32 v61, 0x3482, v91
	v_fmamk_f16 v94, v45, 0x3a0c, v64
	v_fma_f16 v46, v92, 0xb93d, -v46
	v_fmac_f16_e32 v64, 0xba0c, v45
	v_mul_f16_e32 v95, 0xbbad, v93
	v_fmamk_f16 v96, v92, 0xbbad, v61
	v_fma_f16 v61, v92, 0xbbad, -v61
	v_add_f16_e32 v46, v46, v53
	v_add_f16_e32 v53, v64, v57
	v_fmamk_f16 v57, v45, 0xb482, v95
	v_add_f16_e32 v64, v96, v82
	v_mul_f16_e32 v82, 0x3beb, v91
	v_fmac_f16_e32 v95, 0x3482, v45
	v_add_f16_e32 v62, v94, v62
	v_add_f16_e32 v57, v57, v85
	v_mul_f16_e32 v85, 0xb08e, v93
	v_fmamk_f16 v94, v92, 0xb08e, v82
	v_add_f16_e32 v61, v61, v63
	v_add_f16_e32 v63, v95, v83
	v_mul_f16_e32 v83, 0x3853, v91
	v_fmamk_f16 v91, v45, 0xbbeb, v85
	v_fma_f16 v82, v92, 0xb08e, -v82
	v_fmac_f16_e32 v85, 0x3beb, v45
	v_add_f16_e32 v86, v94, v86
	v_fmamk_f16 v94, v92, 0x3abb, v83
	v_add_f16_e32 v88, v91, v88
	v_mul_f16_e32 v91, 0x3abb, v93
	v_add_f16_e32 v82, v82, v84
	v_add_f16_e32 v84, v85, v87
	v_sub_f16_e64 v87, v134, v137
	v_fma_f16 v83, v92, 0x3abb, -v83
	v_add_f16_e64 v92, v134, v137
	v_add_f16_e32 v85, v94, v89
	v_fmamk_f16 v89, v45, 0xb853, v91
	v_add_f16_e64 v93, v133, v140
	v_mul_f16_e32 v94, 0xbbeb, v87
	v_fmac_f16_e32 v91, 0x3853, v45
	v_sub_f16_e64 v45, v133, v140
	v_mul_f16_e32 v95, 0xb08e, v92
	v_add_f16_e32 v89, v89, v90
	v_fmamk_f16 v90, v93, 0xb08e, v94
	v_add_f16_e32 v36, v83, v36
	v_add_f16_e32 v43, v91, v43
	v_fmamk_f16 v83, v45, 0x3beb, v95
	v_mul_f16_e32 v91, 0x3482, v87
	v_add_f16_e32 v54, v90, v54
	v_fma_f16 v90, v93, 0xb08e, -v94
	v_mul_f16_e32 v94, 0xbbad, v92
	v_add_f16_e32 v55, v83, v55
	v_fmamk_f16 v83, v93, 0xbbad, v91
	v_fmac_f16_e32 v95, 0xbbeb, v45
	v_add_f16_e32 v48, v90, v48
	v_mul_f16_e32 v90, 0x3b47, v87
	v_fma_f16 v91, v93, 0xbbad, -v91
	v_add_f16_e32 v50, v83, v50
	v_fmamk_f16 v83, v45, 0xb482, v94
	v_fmac_f16_e32 v94, 0x3482, v45
	v_mul_f16_e32 v96, 0x36a6, v92
	v_add_f16_e32 v47, v95, v47
	v_fmamk_f16 v95, v93, 0x36a6, v90
	v_add_f16_e32 v62, v83, v62
	v_add_f16_e32 v46, v91, v46
	;; [unrolled: 1-line block ×3, first 2 shown]
	v_fmamk_f16 v83, v45, 0xbb47, v96
	v_mul_f16_e32 v91, 0xb853, v87
	v_fma_f16 v90, v93, 0x36a6, -v90
	v_mul_f16_e32 v94, 0x3abb, v92
	v_mul_f16_e32 v87, 0xba0c, v87
	v_add_f16_e32 v57, v83, v57
	v_fmamk_f16 v83, v93, 0x3abb, v91
	v_add_f16_e32 v61, v90, v61
	v_fmamk_f16 v90, v45, 0x3853, v94
	v_fmac_f16_e32 v94, 0xb853, v45
	v_fmac_f16_e32 v96, 0x3b47, v45
	v_add_f16_e32 v83, v83, v86
	v_fma_f16 v86, v93, 0x3abb, -v91
	v_add_f16_e32 v88, v90, v88
	v_fmamk_f16 v90, v93, 0xb93d, v87
	v_mul_f16_e32 v91, 0xb93d, v92
	v_add_f16_e32 v84, v94, v84
	v_add_f16_e64 v94, v135, v136
	v_add_f16_e32 v82, v86, v82
	v_sub_f16_e64 v86, v135, v136
	v_add_f16_e32 v85, v90, v85
	v_fmamk_f16 v90, v45, 0x3a0c, v91
	v_add_f16_e64 v92, v39, v138
	v_fma_f16 v87, v93, 0xb93d, -v87
	v_fmac_f16_e32 v91, 0xba0c, v45
	v_sub_f16_e64 v39, v39, v138
	v_mul_f16_e32 v45, 0xb93d, v94
	v_add_f16_e32 v64, v95, v64
	v_mul_f16_e32 v95, 0xba0c, v86
	v_add_f16_e32 v36, v87, v36
	v_add_f16_e32 v43, v91, v43
	v_fmamk_f16 v87, v39, 0x3a0c, v45
	v_add_f16_e32 v89, v90, v89
	v_fma_f16 v91, v92, 0xb93d, -v95
	v_fmamk_f16 v93, v92, 0xb93d, v95
	v_mul_f16_e32 v90, 0x3beb, v86
	v_add_f16_e32 v55, v87, v55
	v_mul_f16_e32 v87, 0xb08e, v94
	v_fmac_f16_e32 v45, 0xba0c, v39
	v_add_f16_e32 v91, v91, v48
	v_add_f16_e32 v54, v93, v54
	v_fmamk_f16 v93, v92, 0xb08e, v90
	v_fmamk_f16 v48, v39, 0xbbeb, v87
	v_add_f16_e32 v45, v45, v47
	v_mul_f16_e32 v47, 0xb853, v86
	v_fmac_f16_e32 v87, 0x3beb, v39
	v_add_f16_e32 v63, v96, v63
	v_add_f16_e32 v62, v48, v62
	v_mul_f16_e32 v48, 0x3abb, v94
	v_add_f16_e32 v93, v93, v50
	v_fma_f16 v50, v92, 0xb08e, -v90
	v_fmamk_f16 v90, v92, 0x3abb, v47
	v_add_f16_e32 v87, v87, v53
	v_fmamk_f16 v53, v39, 0x3853, v48
	v_fma_f16 v47, v92, 0x3abb, -v47
	v_fmac_f16_e32 v48, 0xb853, v39
	v_add_f16_e32 v46, v50, v46
	v_add_f16_e32 v64, v90, v64
	v_mul_f16_e32 v50, 0xb482, v86
	v_mul_f16_e32 v90, 0xbbad, v94
	v_add_f16_e32 v47, v47, v61
	v_add_f16_e32 v61, v48, v63
	v_mul_f16_e32 v48, 0x3b47, v86
	v_fmamk_f16 v95, v92, 0xbbad, v50
	v_add_f16_e32 v96, v53, v57
	v_fmamk_f16 v53, v39, 0x3482, v90
	v_fmac_f16_e32 v90, 0xb482, v39
	v_fmamk_f16 v57, v92, 0x36a6, v48
	v_sub_f16_e32 v86, v40, v121
	v_add_f16_e32 v63, v95, v83
	v_fma_f16 v50, v92, 0xbbad, -v50
	v_add_f16_e32 v83, v53, v88
	v_mul_f16_e32 v53, 0x36a6, v94
	v_add_f16_e32 v84, v90, v84
	v_add_f16_e32 v85, v57, v85
	;; [unrolled: 1-line block ×3, first 2 shown]
	v_mul_f16_e32 v57, 0xb482, v86
	v_add_f16_e32 v90, v40, v121
	v_add_f16_e32 v82, v50, v82
	v_fmamk_f16 v50, v39, 0xbb47, v53
	v_fma_f16 v40, v92, 0x36a6, -v48
	v_fmac_f16_e32 v53, 0x3b47, v39
	v_fmamk_f16 v39, v88, 0xbbad, v57
	v_sub_f16_e32 v92, v37, v38
	v_mul_f16_e32 v38, 0xbbad, v90
	v_add_f16_e32 v94, v40, v36
	v_add_f16_e32 v95, v53, v43
	;; [unrolled: 1-line block ×3, first 2 shown]
	v_mul_f16_e32 v39, 0x3853, v86
	v_fmamk_f16 v36, v92, 0x3482, v38
	v_fma_f16 v40, v88, 0xbbad, -v57
	v_mul_f16_e32 v43, 0x3abb, v90
	v_fmac_f16_e32 v38, 0xb482, v92
	v_add_f16_e32 v89, v50, v89
	v_fmamk_f16 v53, v88, 0x3abb, v39
	v_add_f16_e32 v37, v36, v55
	v_add_f16_e32 v50, v40, v91
	v_fmamk_f16 v40, v92, 0xb853, v43
	v_add_f16_e32 v36, v38, v45
	v_mul_f16_e32 v45, 0xba0c, v86
	v_mul_f16_e32 v91, 0xb93d, v90
	v_fma_f16 v39, v88, 0x3abb, -v39
	v_add_f16_e32 v38, v40, v62
	v_fmac_f16_e32 v43, 0x3853, v92
	v_fmamk_f16 v40, v88, 0xb93d, v45
	v_fmamk_f16 v55, v92, 0x3a0c, v91
	v_fma_f16 v45, v88, 0xb93d, -v45
	v_add_f16_e32 v54, v39, v46
	v_add_f16_e32 v46, v70, v52
	;; [unrolled: 1-line block ×7, first 2 shown]
	v_fmac_f16_e32 v91, 0xba0c, v92
	v_mul_f16_e32 v47, 0x3b47, v86
	v_mul_f16_e32 v64, 0x36a6, v90
	v_add_f16_e32 v45, v45, v75
	v_add_f16_e32 v46, v46, v76
	;; [unrolled: 1-line block ×4, first 2 shown]
	v_fmamk_f16 v61, v88, 0x36a6, v47
	v_fmamk_f16 v87, v92, 0xbb47, v64
	v_fma_f16 v47, v88, 0x36a6, -v47
	v_add_f16_e32 v91, v45, v71
	v_add_f16_e32 v46, v46, v72
	;; [unrolled: 1-line block ×7, first 2 shown]
	v_fmac_f16_e32 v64, 0x3b47, v92
	v_mul_f16_e32 v63, 0xbbeb, v86
	v_mul_f16_e32 v82, 0xb08e, v90
	v_add_f16_e32 v47, v47, v58
	v_add_f16_e32 v83, v83, v68
	;; [unrolled: 1-line block ×3, first 2 shown]
	v_fmamk_f16 v64, v88, 0xb08e, v63
	v_fmamk_f16 v84, v92, 0x3beb, v82
	v_add_f16_e32 v86, v47, v60
	v_add_f16_e32 v83, v83, v73
	v_fma_f16 v87, v88, 0xb08e, -v63
	v_add_f16_e32 v63, v64, v85
	v_add_f16_e32 v47, v84, v89
	;; [unrolled: 1-line block ×3, first 2 shown]
	v_sub_f16_e32 v85, v52, v81
	v_add_f16_e32 v83, v83, v77
	v_add_f16_e32 v64, v87, v94
	;; [unrolled: 1-line block ×4, first 2 shown]
	v_mul_f16_e32 v87, 0xb853, v85
	v_add_f16_e32 v83, v83, v80
	v_add_f16_e32 v53, v53, v93
	v_fmac_f16_e32 v82, 0xbbeb, v92
	v_add_f16_e32 v88, v52, v81
	v_add_f16_e32 v84, v84, v78
	v_sub_f16_e32 v89, v51, v65
	v_fmamk_f16 v90, v86, 0x3abb, v87
	v_add_f16_e32 v51, v83, v81
	v_mul_f16_e32 v83, 0xbb47, v85
	v_mul_f16_e32 v93, 0xbbeb, v85
	v_mul_f16_e32 v96, 0xba0c, v85
	v_mul_f16_e32 v85, 0xb482, v85
	v_sub_f16_e32 v103, v79, v80
	v_mul_f16_e32 v91, 0x3abb, v88
	v_add_f16_e32 v52, v82, v95
	v_add_f16_e32 v65, v84, v65
	;; [unrolled: 1-line block ×3, first 2 shown]
	v_fma_f16 v84, v86, 0x3abb, -v87
	v_mul_f16_e32 v87, 0x36a6, v88
	v_fmamk_f16 v90, v86, 0x36a6, v83
	v_fma_f16 v83, v86, 0x36a6, -v83
	v_fmamk_f16 v94, v86, 0xb08e, v93
	v_mul_f16_e32 v95, 0xb08e, v88
	v_fma_f16 v93, v86, 0xb08e, -v93
	v_fmamk_f16 v98, v86, 0xb93d, v96
	v_mul_f16_e32 v99, 0xb93d, v88
	v_mul_f16_e32 v88, 0xbbad, v88
	v_fma_f16 v96, v86, 0xb93d, -v96
	v_fmamk_f16 v101, v86, 0xbbad, v85
	v_add_f16_e32 v104, v75, v78
	v_add_f16_e32 v79, v79, v80
	v_mul_f16_e32 v80, 0xbb47, v103
	v_fma_f16 v85, v86, 0xbbad, -v85
	v_fmamk_f16 v82, v89, 0x3853, v91
	v_fmac_f16_e32 v91, 0xb853, v89
	v_add_f16_e32 v84, v34, v84
	v_fmamk_f16 v92, v89, 0x3b47, v87
	v_add_f16_e32 v90, v34, v90
	v_fmac_f16_e32 v87, 0xbb47, v89
	v_add_f16_e32 v83, v34, v83
	v_add_f16_e32 v94, v34, v94
	v_fmamk_f16 v97, v89, 0x3beb, v95
	v_fmac_f16_e32 v95, 0xbbeb, v89
	v_add_f16_e32 v93, v34, v93
	v_add_f16_e32 v98, v34, v98
	v_fmamk_f16 v100, v89, 0x3a0c, v99
	v_fmac_f16_e32 v99, 0xba0c, v89
	v_fmamk_f16 v102, v89, 0x3482, v88
	v_add_f16_e32 v96, v34, v96
	v_add_f16_e32 v101, v34, v101
	v_fmac_f16_e32 v88, 0xb482, v89
	v_sub_f16_e32 v75, v75, v78
	v_mul_f16_e32 v78, 0x36a6, v79
	v_fmamk_f16 v86, v104, 0x36a6, v80
	v_add_f16_e32 v34, v34, v85
	v_mul_f16_e32 v85, 0xba0c, v103
	v_add_f16_e32 v82, v70, v82
	v_add_f16_e32 v91, v70, v91
	;; [unrolled: 1-line block ×10, first 2 shown]
	v_fmamk_f16 v88, v75, 0x3b47, v78
	v_add_f16_e32 v81, v86, v81
	v_fma_f16 v80, v104, 0x36a6, -v80
	v_fmamk_f16 v86, v104, 0xb93d, v85
	v_fmac_f16_e32 v78, 0xbb47, v75
	v_add_f16_e32 v82, v88, v82
	v_mul_f16_e32 v88, 0xb93d, v79
	v_add_f16_e32 v80, v80, v84
	v_add_f16_e32 v84, v86, v90
	v_mul_f16_e32 v86, 0x3482, v103
	v_add_f16_e32 v78, v78, v91
	v_fmamk_f16 v89, v75, 0x3a0c, v88
	v_fma_f16 v85, v104, 0xb93d, -v85
	v_fmac_f16_e32 v88, 0xba0c, v75
	v_mul_f16_e32 v90, 0xbbad, v79
	v_fmamk_f16 v91, v104, 0xbbad, v86
	v_fma_f16 v86, v104, 0xbbad, -v86
	v_add_f16_e32 v83, v85, v83
	v_add_f16_e32 v85, v88, v87
	v_fmamk_f16 v87, v75, 0xb482, v90
	v_add_f16_e32 v88, v91, v94
	v_mul_f16_e32 v91, 0x3beb, v103
	v_add_f16_e32 v86, v86, v93
	v_mul_f16_e32 v93, 0x3853, v103
	v_add_f16_e32 v89, v89, v92
	v_fmac_f16_e32 v90, 0x3482, v75
	v_add_f16_e32 v87, v87, v97
	v_mul_f16_e32 v92, 0xb08e, v79
	v_fmamk_f16 v94, v104, 0xb08e, v91
	v_fma_f16 v91, v104, 0xb08e, -v91
	v_fmamk_f16 v97, v104, 0x3abb, v93
	v_add_f16_e32 v90, v90, v95
	v_fmamk_f16 v95, v75, 0xbbeb, v92
	v_fmac_f16_e32 v92, 0x3beb, v75
	v_mul_f16_e32 v79, 0x3abb, v79
	v_add_f16_e32 v91, v91, v96
	v_add_f16_e32 v96, v97, v101
	v_sub_f16_e32 v97, v76, v77
	v_add_f16_e32 v76, v76, v77
	v_add_f16_e32 v94, v94, v98
	;; [unrolled: 1-line block ×3, first 2 shown]
	v_fmamk_f16 v98, v75, 0xb853, v79
	v_fma_f16 v93, v104, 0x3abb, -v93
	v_add_f16_e32 v77, v71, v74
	v_mul_f16_e32 v99, 0xbbeb, v97
	v_fmac_f16_e32 v79, 0x3853, v75
	v_sub_f16_e32 v71, v71, v74
	v_mul_f16_e32 v74, 0xb08e, v76
	v_add_f16_e32 v75, v98, v102
	v_fmamk_f16 v98, v77, 0xb08e, v99
	v_add_f16_e32 v34, v93, v34
	v_add_f16_e32 v70, v79, v70
	v_fmamk_f16 v79, v71, 0x3beb, v74
	v_mul_f16_e32 v93, 0x3482, v97
	v_add_f16_e32 v81, v98, v81
	v_fma_f16 v98, v77, 0xb08e, -v99
	v_fmac_f16_e32 v74, 0xbbeb, v71
	v_add_f16_e32 v79, v79, v82
	v_fmamk_f16 v82, v77, 0xbbad, v93
	v_mul_f16_e32 v99, 0xbbad, v76
	v_add_f16_e32 v95, v95, v100
	v_add_f16_e32 v74, v74, v78
	v_mul_f16_e32 v78, 0x3b47, v97
	v_add_f16_e32 v82, v82, v84
	v_fmamk_f16 v84, v71, 0xb482, v99
	v_fma_f16 v93, v77, 0xbbad, -v93
	v_mul_f16_e32 v100, 0x36a6, v76
	v_add_f16_e32 v80, v98, v80
	v_fmamk_f16 v98, v77, 0x36a6, v78
	v_add_f16_e32 v84, v84, v89
	v_add_f16_e32 v83, v93, v83
	v_fmamk_f16 v89, v71, 0xbb47, v100
	v_mul_f16_e32 v93, 0xb853, v97
	v_add_f16_e32 v88, v98, v88
	v_fma_f16 v78, v77, 0x36a6, -v78
	v_fmac_f16_e32 v100, 0x3b47, v71
	v_mul_f16_e32 v98, 0x3abb, v76
	v_add_f16_e32 v87, v89, v87
	v_fmamk_f16 v89, v77, 0x3abb, v93
	v_mul_f16_e32 v97, 0xba0c, v97
	v_fma_f16 v93, v77, 0x3abb, -v93
	v_add_f16_e32 v78, v78, v86
	v_add_f16_e32 v86, v100, v90
	v_fmamk_f16 v90, v71, 0x3853, v98
	v_add_f16_e32 v89, v89, v94
	v_fmamk_f16 v94, v77, 0xb93d, v97
	v_mul_f16_e32 v76, 0xb93d, v76
	v_add_f16_e32 v91, v93, v91
	v_sub_f16_e32 v93, v72, v73
	v_add_f16_e32 v72, v72, v73
	v_add_f16_e32 v90, v90, v95
	;; [unrolled: 1-line block ×3, first 2 shown]
	v_fmamk_f16 v95, v71, 0x3a0c, v76
	v_add_f16_e32 v96, v66, v69
	v_fmac_f16_e32 v76, 0xba0c, v71
	v_sub_f16_e32 v66, v66, v69
	v_mul_f16_e32 v69, 0xb93d, v72
	v_mul_f16_e32 v73, 0xba0c, v93
	v_fma_f16 v77, v77, 0xb93d, -v97
	v_add_f16_e32 v70, v76, v70
	v_fmac_f16_e32 v99, 0x3482, v71
	v_fmamk_f16 v76, v66, 0x3a0c, v69
	v_fmac_f16_e32 v98, 0xb853, v71
	v_fmamk_f16 v71, v96, 0xb93d, v73
	v_add_f16_e32 v34, v77, v34
	v_mul_f16_e32 v77, 0x3beb, v93
	v_fma_f16 v73, v96, 0xb93d, -v73
	v_fmac_f16_e32 v69, 0xba0c, v66
	v_add_f16_e32 v76, v76, v79
	v_mul_f16_e32 v79, 0xb08e, v72
	v_add_f16_e32 v71, v71, v81
	v_fmamk_f16 v81, v96, 0xb08e, v77
	v_add_f16_e32 v73, v73, v80
	v_add_f16_e32 v69, v69, v74
	v_mul_f16_e32 v74, 0xb853, v93
	v_fmamk_f16 v80, v66, 0xbbeb, v79
	v_fma_f16 v77, v96, 0xb08e, -v77
	v_add_f16_e32 v85, v99, v85
	v_add_f16_e32 v81, v81, v82
	v_fmac_f16_e32 v79, 0x3beb, v66
	v_fmamk_f16 v82, v96, 0x3abb, v74
	v_add_f16_e32 v80, v80, v84
	v_mul_f16_e32 v84, 0x3abb, v72
	v_add_f16_e32 v77, v77, v83
	v_mul_f16_e32 v83, 0xb482, v93
	v_add_f16_e32 v75, v95, v75
	v_add_f16_e32 v79, v79, v85
	;; [unrolled: 1-line block ×3, first 2 shown]
	v_fmamk_f16 v85, v66, 0x3853, v84
	v_fma_f16 v74, v96, 0x3abb, -v74
	v_mul_f16_e32 v88, 0xbbad, v72
	v_fmamk_f16 v95, v96, 0xbbad, v83
	v_fma_f16 v83, v96, 0xbbad, -v83
	v_mul_f16_e32 v72, 0x36a6, v72
	v_fmac_f16_e32 v84, 0xb853, v66
	v_add_f16_e32 v85, v85, v87
	v_add_f16_e32 v78, v74, v78
	v_fmamk_f16 v74, v66, 0x3482, v88
	v_mul_f16_e32 v87, 0x3b47, v93
	v_add_f16_e32 v83, v83, v91
	v_fmamk_f16 v91, v66, 0xbb47, v72
	v_add_f16_e32 v92, v98, v92
	v_add_f16_e32 v84, v84, v86
	;; [unrolled: 1-line block ×4, first 2 shown]
	v_fmac_f16_e32 v88, 0xb482, v66
	v_fmamk_f16 v74, v96, 0x36a6, v87
	v_sub_f16_e32 v90, v67, v68
	v_add_f16_e32 v75, v91, v75
	v_add_f16_e32 v91, v67, v68
	v_fma_f16 v67, v96, 0x36a6, -v87
	v_add_f16_e32 v88, v88, v92
	v_add_f16_e32 v92, v74, v94
	;; [unrolled: 1-line block ×3, first 2 shown]
	v_mul_f16_e32 v74, 0xb482, v90
	v_fmac_f16_e32 v72, 0x3b47, v66
	v_sub_f16_e32 v87, v58, v60
	v_mul_f16_e32 v58, 0xbbad, v91
	v_add_f16_e32 v94, v67, v34
	v_mul_f16_e32 v67, 0x3853, v90
	v_fmamk_f16 v66, v93, 0xbbad, v74
	v_add_f16_e32 v95, v72, v70
	v_fmamk_f16 v60, v87, 0x3482, v58
	v_mul_f16_e32 v68, 0x3abb, v91
	v_fmamk_f16 v70, v93, 0x3abb, v67
	v_add_f16_e32 v34, v66, v71
	v_fma_f16 v66, v93, 0xbbad, -v74
	v_fmac_f16_e32 v58, 0xb482, v87
	v_add_f16_e32 v60, v60, v76
	v_add_f16_e32 v76, v70, v81
	v_mul_f16_e32 v70, 0xb93d, v91
	v_add_f16_e32 v74, v66, v73
	v_fmamk_f16 v66, v87, 0xb853, v68
	v_add_f16_e32 v58, v58, v69
	v_mul_f16_e32 v69, 0xba0c, v90
	v_fma_f16 v67, v93, 0x3abb, -v67
	v_fmac_f16_e32 v68, 0x3853, v87
	v_fmamk_f16 v72, v87, 0x3a0c, v70
	v_fmac_f16_e32 v70, 0xba0c, v87
	v_fmamk_f16 v71, v93, 0xb93d, v69
	v_fma_f16 v69, v93, 0xb93d, -v69
	v_add_f16_e32 v77, v67, v77
	v_add_f16_e32 v67, v68, v79
	;; [unrolled: 1-line block ×7, first 2 shown]
	v_mul_f16_e32 v71, 0x3b47, v90
	v_mul_f16_e32 v82, 0x36a6, v91
	v_add_f16_e32 v69, v70, v84
	v_add_f16_e32 v70, v72, v33
	;; [unrolled: 1-line block ×4, first 2 shown]
	v_fmamk_f16 v80, v93, 0x36a6, v71
	v_fmamk_f16 v73, v87, 0xbb47, v82
	v_fma_f16 v71, v93, 0x36a6, -v71
	v_add_f16_e32 v84, v70, v29
	v_add_f16_e32 v72, v72, v31
	;; [unrolled: 1-line block ×4, first 2 shown]
	v_mul_f16_e32 v73, 0xbbeb, v90
	v_add_f16_e32 v80, v71, v83
	v_add_f16_e32 v71, v84, v24
	;; [unrolled: 1-line block ×3, first 2 shown]
	v_fmac_f16_e32 v82, 0x3b47, v87
	v_fmamk_f16 v83, v93, 0xb08e, v73
	v_mul_f16_e32 v84, 0xb08e, v91
	v_add_f16_e32 v85, v71, v19
	v_add_f16_e32 v72, v72, v22
	;; [unrolled: 1-line block ×4, first 2 shown]
	v_fmamk_f16 v83, v87, 0x3beb, v84
	v_add_f16_e32 v85, v85, v20
	v_add_f16_e32 v86, v72, v23
	v_fma_f16 v73, v93, 0xb08e, -v73
	v_fmac_f16_e32 v84, 0xbbeb, v87
	v_add_f16_e32 v72, v83, v75
	v_add_f16_e32 v75, v85, v26
	;; [unrolled: 1-line block ×5, first 2 shown]
	v_sub_f16_e32 v84, v56, v59
	v_add_f16_e32 v75, v75, v30
	v_add_f16_e32 v85, v85, v32
	;; [unrolled: 1-line block ×4, first 2 shown]
	v_mul_f16_e32 v87, 0xb853, v84
	v_add_f16_e32 v75, v75, v35
	v_add_f16_e32 v85, v85, v44
	v_sub_f16_e32 v42, v42, v49
	v_mul_f16_e32 v88, 0x3abb, v56
	v_mul_f16_e32 v91, 0x36a6, v56
	v_add_f16_e32 v49, v75, v49
	v_add_f16_e32 v75, v85, v59
	v_mul_f16_e32 v59, 0xbb47, v84
	v_mul_f16_e32 v92, 0xbbeb, v84
	;; [unrolled: 1-line block ×7, first 2 shown]
	v_sub_f16_e32 v102, v41, v44
	v_fmamk_f16 v89, v86, 0x3abb, v87
	v_fma_f16 v87, v86, 0x3abb, -v87
	v_fmamk_f16 v90, v86, 0x36a6, v59
	v_fma_f16 v59, v86, 0x36a6, -v59
	;; [unrolled: 2-line block ×4, first 2 shown]
	v_fmamk_f16 v101, v86, 0xbbad, v84
	v_fmamk_f16 v103, v42, 0x3482, v56
	v_fma_f16 v84, v86, 0xbbad, -v84
	v_add_f16_e32 v41, v41, v44
	v_add_f16_e32 v44, v33, v35
	v_mul_f16_e32 v86, 0xbb47, v102
	v_fmamk_f16 v85, v42, 0x3853, v88
	v_add_f16_e32 v89, v17, v89
	v_fmac_f16_e32 v88, 0xb853, v42
	v_fmamk_f16 v93, v42, 0x3b47, v91
	v_fmac_f16_e32 v91, 0xbb47, v42
	v_fmamk_f16 v96, v42, 0x3beb, v94
	v_fmac_f16_e32 v94, 0xbbeb, v42
	v_fmamk_f16 v100, v42, 0x3a0c, v98
	v_fmac_f16_e32 v98, 0xba0c, v42
	v_fmac_f16_e32 v56, 0xb482, v42
	v_sub_f16_e32 v33, v33, v35
	v_mul_f16_e32 v35, 0x36a6, v41
	v_add_f16_e32 v42, v25, v103
	v_fmamk_f16 v103, v44, 0x36a6, v86
	v_add_f16_e32 v85, v25, v85
	v_add_f16_e32 v87, v17, v87
	;; [unrolled: 1-line block ×18, first 2 shown]
	v_fmamk_f16 v56, v33, 0x3b47, v35
	v_mul_f16_e32 v84, 0xba0c, v102
	v_add_f16_e32 v89, v103, v89
	v_fma_f16 v86, v44, 0x36a6, -v86
	v_fmac_f16_e32 v35, 0xbb47, v33
	v_mul_f16_e32 v103, 0xb93d, v41
	v_add_f16_e32 v56, v56, v85
	v_fmamk_f16 v85, v44, 0xb93d, v84
	v_add_f16_e32 v86, v86, v87
	v_add_f16_e32 v35, v35, v88
	v_mul_f16_e32 v87, 0x3482, v102
	v_fmamk_f16 v88, v33, 0x3a0c, v103
	v_fma_f16 v84, v44, 0xb93d, -v84
	v_fmac_f16_e32 v103, 0xba0c, v33
	v_mul_f16_e32 v104, 0xbbad, v41
	v_add_f16_e32 v85, v85, v90
	v_fmamk_f16 v90, v44, 0xbbad, v87
	v_add_f16_e32 v88, v88, v93
	v_add_f16_e32 v59, v84, v59
	;; [unrolled: 1-line block ×3, first 2 shown]
	v_fmamk_f16 v91, v33, 0xb482, v104
	v_mul_f16_e32 v93, 0x3beb, v102
	v_add_f16_e32 v90, v90, v95
	v_fma_f16 v87, v44, 0xbbad, -v87
	v_mul_f16_e32 v95, 0xb08e, v41
	v_add_f16_e32 v91, v91, v96
	v_fmamk_f16 v96, v44, 0xb08e, v93
	v_mul_f16_e32 v102, 0x3853, v102
	v_fma_f16 v93, v44, 0xb08e, -v93
	v_add_f16_e32 v87, v87, v92
	v_fmamk_f16 v92, v33, 0xbbeb, v95
	v_add_f16_e32 v96, v96, v99
	v_fmac_f16_e32 v95, 0x3beb, v33
	v_fmamk_f16 v99, v44, 0x3abb, v102
	v_add_f16_e32 v93, v93, v97
	v_sub_f16_e32 v97, v31, v32
	v_add_f16_e32 v92, v92, v100
	v_mul_f16_e32 v41, 0x3abb, v41
	v_add_f16_e32 v95, v95, v98
	v_add_f16_e32 v98, v99, v101
	v_add_f16_e32 v100, v29, v30
	v_mul_f16_e32 v101, 0xbbeb, v97
	v_add_f16_e32 v31, v31, v32
	v_fmac_f16_e32 v104, 0x3482, v33
	v_fmamk_f16 v99, v33, 0xb853, v41
	v_fma_f16 v32, v44, 0x3abb, -v102
	v_fmac_f16_e32 v41, 0x3853, v33
	v_sub_f16_e32 v29, v29, v30
	v_fmamk_f16 v30, v100, 0xb08e, v101
	v_mul_f16_e32 v33, 0xb08e, v31
	v_add_f16_e32 v17, v32, v17
	v_add_f16_e32 v25, v41, v25
	v_mul_f16_e32 v41, 0x3482, v97
	v_add_f16_e32 v30, v30, v89
	v_fmamk_f16 v32, v29, 0x3beb, v33
	v_fma_f16 v44, v100, 0xb08e, -v101
	v_fmac_f16_e32 v33, 0xbbeb, v29
	v_mul_f16_e32 v89, 0xbbad, v31
	v_add_f16_e32 v94, v104, v94
	v_add_f16_e32 v32, v32, v56
	v_fmamk_f16 v56, v100, 0xbbad, v41
	v_add_f16_e32 v44, v44, v86
	v_add_f16_e32 v33, v33, v35
	v_fmamk_f16 v35, v29, 0xb482, v89
	v_mul_f16_e32 v86, 0x3b47, v97
	v_fma_f16 v41, v100, 0xbbad, -v41
	v_fmac_f16_e32 v89, 0x3482, v29
	v_add_f16_e32 v56, v56, v85
	v_add_f16_e32 v35, v35, v88
	v_fmamk_f16 v85, v100, 0x36a6, v86
	v_mul_f16_e32 v88, 0x36a6, v31
	v_add_f16_e32 v41, v41, v59
	v_add_f16_e32 v59, v89, v84
	v_mul_f16_e32 v84, 0xb853, v97
	v_add_f16_e32 v42, v99, v42
	v_add_f16_e32 v85, v85, v90
	v_fmamk_f16 v89, v29, 0xbb47, v88
	v_fma_f16 v86, v100, 0x36a6, -v86
	v_fmac_f16_e32 v88, 0x3b47, v29
	v_fmamk_f16 v90, v100, 0x3abb, v84
	v_mul_f16_e32 v99, 0x3abb, v31
	v_mul_f16_e32 v31, 0xb93d, v31
	v_add_f16_e32 v86, v86, v87
	v_add_f16_e32 v87, v88, v94
	;; [unrolled: 1-line block ×3, first 2 shown]
	v_fmamk_f16 v90, v29, 0x3853, v99
	v_fma_f16 v84, v100, 0x3abb, -v84
	v_fmac_f16_e32 v99, 0xb853, v29
	v_add_f16_e32 v89, v89, v91
	v_mul_f16_e32 v91, 0xba0c, v97
	v_fmamk_f16 v94, v29, 0x3a0c, v31
	v_add_f16_e32 v84, v84, v93
	v_add_f16_e32 v93, v99, v95
	v_sub_f16_e32 v95, v27, v28
	v_add_f16_e32 v27, v27, v28
	v_add_f16_e32 v90, v90, v92
	v_fmamk_f16 v92, v100, 0xb93d, v91
	v_add_f16_e32 v42, v94, v42
	v_add_f16_e32 v94, v24, v26
	v_mul_f16_e32 v28, 0xba0c, v95
	v_fma_f16 v91, v100, 0xb93d, -v91
	v_fmac_f16_e32 v31, 0xba0c, v29
	v_sub_f16_e32 v24, v24, v26
	v_mul_f16_e32 v26, 0xb93d, v27
	v_fmamk_f16 v29, v94, 0xb93d, v28
	v_add_f16_e32 v17, v91, v17
	v_add_f16_e32 v25, v31, v25
	v_mul_f16_e32 v31, 0x3beb, v95
	v_fmamk_f16 v91, v24, 0x3a0c, v26
	v_add_f16_e32 v29, v29, v30
	v_fma_f16 v28, v94, 0xb93d, -v28
	v_fmac_f16_e32 v26, 0xba0c, v24
	v_fmamk_f16 v30, v94, 0xb08e, v31
	v_add_f16_e32 v32, v91, v32
	v_mul_f16_e32 v91, 0xb08e, v27
	v_add_f16_e32 v28, v28, v44
	v_add_f16_e32 v26, v26, v33
	;; [unrolled: 1-line block ×3, first 2 shown]
	v_mul_f16_e32 v33, 0xb853, v95
	v_fmamk_f16 v44, v24, 0xbbeb, v91
	v_mul_f16_e32 v56, 0x3abb, v27
	v_fma_f16 v31, v94, 0xb08e, -v31
	v_fmac_f16_e32 v91, 0x3beb, v24
	v_fmamk_f16 v96, v94, 0x3abb, v33
	v_add_f16_e32 v35, v44, v35
	v_fmamk_f16 v44, v24, 0x3853, v56
	v_add_f16_e32 v31, v31, v41
	v_add_f16_e32 v41, v91, v59
	;; [unrolled: 1-line block ×3, first 2 shown]
	v_mul_f16_e32 v85, 0xb482, v95
	v_fma_f16 v33, v94, 0x3abb, -v33
	v_fmac_f16_e32 v56, 0xb853, v24
	v_add_f16_e32 v44, v44, v89
	v_mul_f16_e32 v89, 0xbbad, v27
	v_fmamk_f16 v91, v94, 0xbbad, v85
	v_add_f16_e32 v33, v33, v86
	v_add_f16_e32 v56, v56, v87
	v_mul_f16_e32 v86, 0x3b47, v95
	v_fmamk_f16 v87, v24, 0x3482, v89
	v_add_f16_e32 v92, v92, v98
	v_add_f16_e32 v88, v91, v88
	v_fma_f16 v85, v94, 0xbbad, -v85
	v_fmac_f16_e32 v89, 0xb482, v24
	v_fmamk_f16 v91, v94, 0x36a6, v86
	v_add_f16_e32 v87, v87, v90
	v_mul_f16_e32 v27, 0x36a6, v27
	v_sub_f16_e32 v90, v22, v23
	v_add_f16_e32 v22, v22, v23
	v_add_f16_e32 v84, v85, v84
	;; [unrolled: 1-line block ×4, first 2 shown]
	v_fmamk_f16 v91, v24, 0xbb47, v27
	v_fma_f16 v86, v94, 0x36a6, -v86
	v_add_f16_e32 v23, v19, v20
	v_fmac_f16_e32 v27, 0x3b47, v24
	v_sub_f16_e32 v19, v19, v20
	v_mul_f16_e32 v20, 0xbbad, v22
	v_mul_f16_e32 v92, 0xb482, v90
	v_add_f16_e32 v17, v86, v17
	v_add_f16_e32 v25, v27, v25
	v_mul_f16_e32 v86, 0x3853, v90
	v_fmamk_f16 v27, v19, 0x3482, v20
	v_add_f16_e32 v24, v91, v42
	v_fmamk_f16 v42, v23, 0xbbad, v92
	v_fmac_f16_e32 v20, 0xb482, v19
	ds_store_b16 v0, v21
	ds_store_b16 v0, v48 offset:102
	ds_store_b16 v0, v53 offset:204
	;; [unrolled: 1-line block ×15, first 2 shown]
	v_add_f16_e32 v91, v27, v32
	v_fmamk_f16 v27, v23, 0x3abb, v86
	v_mul_f16_e32 v32, 0x3abb, v22
	v_add_f16_e32 v29, v42, v29
	v_fma_f16 v42, v23, 0xbbad, -v92
	v_add_f16_e32 v92, v20, v26
	v_mul_f16_e32 v20, 0xba0c, v90
	v_add_f16_e32 v26, v27, v30
	v_fmamk_f16 v27, v19, 0xb853, v32
	v_add_f16_e32 v28, v42, v28
	v_fma_f16 v30, v23, 0x3abb, -v86
	v_fmac_f16_e32 v32, 0x3853, v19
	v_fmamk_f16 v42, v23, 0xb93d, v20
	v_mul_f16_e32 v86, 0xb93d, v22
	v_add_f16_e32 v93, v27, v35
	v_fma_f16 v20, v23, 0xb93d, -v20
	v_mul_f16_e32 v35, 0x36a6, v22
	v_add_f16_e32 v27, v30, v31
	v_add_f16_e32 v94, v32, v41
	v_fmamk_f16 v31, v19, 0x3a0c, v86
	v_mul_f16_e32 v32, 0x3b47, v90
	v_add_f16_e32 v20, v20, v33
	v_fmamk_f16 v33, v19, 0xbb47, v35
	v_mul_f16_e32 v41, 0xbbeb, v90
	v_mul_f16_e32 v22, 0xb08e, v22
	v_add_f16_e32 v95, v31, v44
	v_fmamk_f16 v31, v23, 0x36a6, v32
	v_fma_f16 v32, v23, 0x36a6, -v32
	v_add_f16_e32 v87, v33, v87
	v_fmamk_f16 v33, v23, 0xb08e, v41
	v_fma_f16 v23, v23, 0xb08e, -v41
	v_add_f16_e32 v30, v42, v59
	v_fmac_f16_e32 v86, 0xba0c, v19
	v_fmac_f16_e32 v35, 0x3b47, v19
	v_fmamk_f16 v42, v19, 0x3beb, v22
	v_fmac_f16_e32 v22, 0xbbeb, v19
	v_add_f16_e32 v31, v31, v88
	v_add_f16_e32 v32, v32, v84
	;; [unrolled: 1-line block ×8, first 2 shown]
	v_lshl_add_u32 v63, v16, 1, 0
	ds_store_b16 v0, v82 offset:1632
	ds_store_b16 v0, v83 offset:1734
	;; [unrolled: 1-line block ×17, first 2 shown]
	global_wb scope:SCOPE_SE
	s_wait_dscnt 0x0
	s_barrier_signal -1
	s_barrier_wait -1
	global_inv scope:SCOPE_SE
	ds_load_u16 v24, v0 offset:1326
	ds_load_u16 v31, v0 offset:1428
	;; [unrolled: 1-line block ×3, first 2 shown]
	ds_load_u16 v17, v0
	ds_load_u16 v19, v0 offset:102
	ds_load_u16 v20, v0 offset:204
	;; [unrolled: 1-line block ×29, first 2 shown]
	global_wb scope:SCOPE_SE
	s_wait_dscnt 0x0
	s_barrier_signal -1
	s_barrier_wait -1
	global_inv scope:SCOPE_SE
	ds_store_b16 v0, v18
	ds_store_b16 v0, v37 offset:102
	ds_store_b16 v0, v38 offset:204
	;; [unrolled: 1-line block ×32, first 2 shown]
	global_wb scope:SCOPE_SE
	s_wait_dscnt 0x0
	s_barrier_signal -1
	s_barrier_wait -1
	global_inv scope:SCOPE_SE
	s_and_saveexec_b32 s0, vcc_lo
	s_cbranch_execz .LBB0_21
; %bb.20:
	v_dual_mov_b32 v37, 0 :: v_dual_lshlrev_b32 v36, 1, v15
	v_add_nc_u32_e32 v83, 51, v7
	s_delay_alu instid0(VALU_DEP_2) | instskip(SKIP_1) | instid1(VALU_DEP_3)
	v_lshlrev_b64_e32 v[38:39], 2, v[36:37]
	v_lshlrev_b32_e32 v36, 1, v14
	v_mul_hi_u32 v18, 0xd347a4bd, v83
	s_delay_alu instid0(VALU_DEP_3) | instskip(SKIP_1) | instid1(VALU_DEP_4)
	v_add_co_u32 v14, vcc_lo, s8, v38
	s_wait_alu 0xfffd
	v_add_co_ci_u32_e32 v15, vcc_lo, s9, v39, vcc_lo
	v_lshlrev_b64_e32 v[38:39], 2, v[36:37]
	v_lshlrev_b32_e32 v36, 1, v13
	global_load_b64 v[13:14], v[14:15], off offset:2176
	v_lshlrev_b64_e32 v[45:46], 2, v[36:37]
	v_lshlrev_b32_e32 v36, 1, v12
	v_add_co_u32 v38, vcc_lo, s8, v38
	s_wait_alu 0xfffd
	v_add_co_ci_u32_e32 v39, vcc_lo, s9, v39, vcc_lo
	s_delay_alu instid0(VALU_DEP_3) | instskip(SKIP_4) | instid1(VALU_DEP_3)
	v_lshlrev_b64_e32 v[51:52], 2, v[36:37]
	v_lshlrev_b32_e32 v36, 1, v11
	v_add_co_u32 v45, vcc_lo, s8, v45
	s_wait_alu 0xfffd
	v_add_co_ci_u32_e32 v46, vcc_lo, s9, v46, vcc_lo
	v_lshlrev_b64_e32 v[11:12], 2, v[36:37]
	v_add_co_u32 v51, vcc_lo, s8, v51
	s_wait_alu 0xfffd
	v_add_co_ci_u32_e32 v52, vcc_lo, s9, v52, vcc_lo
	v_lshlrev_b32_e32 v36, 1, v10
	s_delay_alu instid0(VALU_DEP_4)
	v_add_co_u32 v11, vcc_lo, s8, v11
	s_wait_alu 0xfffd
	v_add_co_ci_u32_e32 v12, vcc_lo, s9, v12, vcc_lo
	s_clause 0x3
	global_load_b64 v[38:39], v[38:39], off offset:2176
	global_load_b64 v[51:52], v[51:52], off offset:2176
	;; [unrolled: 1-line block ×4, first 2 shown]
	v_lshlrev_b64_e32 v[10:11], 2, v[36:37]
	v_lshlrev_b32_e32 v36, 1, v9
	s_delay_alu instid0(VALU_DEP_2) | instskip(SKIP_1) | instid1(VALU_DEP_3)
	v_add_co_u32 v10, vcc_lo, s8, v10
	s_wait_alu 0xfffd
	v_add_co_ci_u32_e32 v11, vcc_lo, s9, v11, vcc_lo
	global_load_b64 v[65:66], v[10:11], off offset:2176
	v_lshlrev_b64_e32 v[9:10], 2, v[36:37]
	v_lshlrev_b32_e32 v36, 1, v8
	ds_load_u16 v11, v0 offset:3264
	v_add_co_u32 v9, vcc_lo, s8, v9
	s_wait_alu 0xfffd
	v_add_co_ci_u32_e32 v10, vcc_lo, s9, v10, vcc_lo
	global_load_b64 v[67:68], v[9:10], off offset:2176
	v_lshlrev_b64_e32 v[8:9], 2, v[36:37]
	v_lshlrev_b32_e32 v36, 1, v6
	v_mul_lo_u32 v10, s2, v4
	s_delay_alu instid0(VALU_DEP_3) | instskip(SKIP_1) | instid1(VALU_DEP_4)
	v_add_co_u32 v8, vcc_lo, s8, v8
	s_wait_alu 0xfffd
	v_add_co_ci_u32_e32 v9, vcc_lo, s9, v9, vcc_lo
	global_load_b64 v[69:70], v[8:9], off offset:2176
	v_lshlrev_b64_e32 v[8:9], 2, v[36:37]
	v_lshlrev_b32_e32 v36, 1, v5
	s_delay_alu instid0(VALU_DEP_1) | instskip(NEXT) | instid1(VALU_DEP_3)
	v_lshlrev_b64_e32 v[5:6], 2, v[36:37]
	v_add_co_u32 v8, vcc_lo, s8, v8
	s_wait_alu 0xfffd
	s_delay_alu instid0(VALU_DEP_4) | instskip(SKIP_1) | instid1(VALU_DEP_4)
	v_add_co_ci_u32_e32 v9, vcc_lo, s9, v9, vcc_lo
	v_lshlrev_b32_e32 v36, 1, v7
	v_add_co_u32 v5, vcc_lo, s8, v5
	s_wait_alu 0xfffd
	v_add_co_ci_u32_e32 v6, vcc_lo, s9, v6, vcc_lo
	s_clause 0x1
	global_load_b64 v[71:72], v[8:9], off offset:2176
	global_load_b64 v[73:74], v[5:6], off offset:2176
	v_lshlrev_b64_e32 v[5:6], 2, v[36:37]
	v_mul_lo_u32 v8, s3, v3
	s_delay_alu instid0(VALU_DEP_2) | instskip(SKIP_1) | instid1(VALU_DEP_3)
	v_add_co_u32 v5, vcc_lo, s8, v5
	s_wait_alu 0xfffd
	v_add_co_ci_u32_e32 v6, vcc_lo, s9, v6, vcc_lo
	global_load_b64 v[75:76], v[5:6], off offset:2176
	v_mul_hi_u32 v6, 0xd347a4bd, v7
	ds_load_u16 v47, v0 offset:1530
	ds_load_u16 v58, v0 offset:1428
	;; [unrolled: 1-line block ×5, first 2 shown]
	v_sub_nc_u32_e32 v5, v7, v6
	s_delay_alu instid0(VALU_DEP_1) | instskip(SKIP_1) | instid1(VALU_DEP_2)
	v_lshrrev_b32_e32 v9, 1, v5
	v_mad_co_u64_u32 v[4:5], null, s2, v3, 0
	v_add_nc_u32_e32 v3, v9, v6
	s_delay_alu instid0(VALU_DEP_2) | instskip(NEXT) | instid1(VALU_DEP_2)
	v_add3_u32 v5, v5, v10, v8
	v_lshrrev_b32_e32 v6, 9, v3
	v_sub_nc_u32_e32 v8, v83, v18
	ds_load_u16 v12, v0 offset:1020
	ds_load_u16 v3, v0 offset:918
	;; [unrolled: 1-line block ×11, first 2 shown]
	v_lshlrev_b64_e32 v[4:5], 2, v[4:5]
	v_mul_u32_u24_e32 v6, 0x231, v6
	v_lshrrev_b32_e32 v77, 1, v8
	ds_load_u16 v10, v0 offset:3162
	ds_load_u16 v88, v0 offset:3060
	;; [unrolled: 1-line block ×15, first 2 shown]
	ds_load_u16 v102, v0
	v_lshlrev_b64_e32 v[0:1], 2, v[1:2]
	v_sub_nc_u32_e32 v6, v7, v6
	v_add_nc_u32_e32 v18, v77, v18
	s_delay_alu instid0(VALU_DEP_2) | instskip(SKIP_2) | instid1(VALU_DEP_4)
	v_mad_co_u64_u32 v[8:9], null, s16, v6, 0
	v_add_nc_u32_e32 v105, 0x231, v6
	v_add_nc_u32_e32 v106, 0x462, v6
	v_lshrrev_b32_e32 v103, 9, v18
	s_delay_alu instid0(VALU_DEP_4)
	v_mov_b32_e32 v2, v9
	v_add_co_u32 v9, vcc_lo, s6, v4
	s_wait_alu 0xfffd
	v_add_co_ci_u32_e32 v77, vcc_lo, s7, v5, vcc_lo
	s_wait_dscnt 0x19
	v_mad_co_u64_u32 v[4:5], null, s17, v6, v[2:3]
	v_add_co_u32 v0, vcc_lo, v9, v0
	v_mul_u32_u24_e32 v104, 0x231, v103
	s_wait_alu 0xfffd
	v_add_co_ci_u32_e32 v1, vcc_lo, v77, v1, vcc_lo
	v_mad_co_u64_u32 v[77:78], null, s16, v105, 0
	v_mov_b32_e32 v9, v4
	s_delay_alu instid0(VALU_DEP_1) | instskip(SKIP_3) | instid1(VALU_DEP_2)
	v_lshlrev_b64_e32 v[79:80], 2, v[8:9]
	s_wait_loadcnt 0xa
	v_lshrrev_b32_e32 v2, 16, v13
	v_lshrrev_b32_e32 v4, 16, v14
	v_mul_f16_e32 v5, v61, v2
	s_delay_alu instid0(VALU_DEP_2)
	v_mul_f16_e32 v6, v62, v4
	s_wait_dscnt 0x15
	v_mul_f16_e32 v2, v36, v2
	v_mul_f16_e32 v8, v11, v4
	v_fma_f16 v5, v13, v36, -v5
	v_fma_f16 v6, v14, v11, -v6
	s_delay_alu instid0(VALU_DEP_4) | instskip(NEXT) | instid1(VALU_DEP_4)
	v_fmac_f16_e32 v2, v61, v13
	v_fmac_f16_e32 v8, v62, v14
	s_delay_alu instid0(VALU_DEP_4) | instskip(NEXT) | instid1(VALU_DEP_4)
	v_add_f16_e32 v62, v12, v5
	v_add_f16_e32 v36, v5, v6
	v_sub_f16_e32 v108, v5, v6
	s_delay_alu instid0(VALU_DEP_4)
	v_add_f16_e32 v107, v2, v8
	v_sub_f16_e32 v61, v2, v8
	v_add_f16_e32 v109, v57, v2
	v_fma_f16 v2, -0.5, v36, v12
	v_add_f16_e32 v5, v62, v6
	s_wait_loadcnt 0x9
	v_lshrrev_b32_e32 v4, 16, v38
	v_lshrrev_b32_e32 v9, 16, v39
	v_add_f16_e32 v6, v109, v8
	v_fmamk_f16 v8, v61, 0xbaee, v2
	v_fmac_f16_e32 v2, 0x3aee, v61
	v_mul_f16_e32 v13, v56, v4
	v_mul_f16_e32 v11, v59, v9
	s_wait_dscnt 0x14
	v_mul_f16_e32 v14, v37, v4
	s_wait_dscnt 0xf
	v_mul_f16_e32 v18, v10, v9
	s_wait_loadcnt 0x7
	v_lshrrev_b32_e32 v4, 16, v45
	v_lshrrev_b32_e32 v9, 16, v46
	v_fma_f16 v10, v39, v10, -v11
	v_fma_f16 v11, v38, v37, -v13
	v_fmac_f16_e32 v14, v56, v38
	v_fmac_f16_e32 v18, v59, v39
	v_mul_f16_e32 v13, v54, v4
	v_mul_f16_e32 v37, v55, v9
	;; [unrolled: 1-line block ×3, first 2 shown]
	s_wait_dscnt 0xe
	v_mul_f16_e32 v39, v88, v9
	v_lshrrev_b32_e32 v9, 16, v51
	v_lshrrev_b32_e32 v56, 16, v52
	v_fma_f16 v4, -0.5, v107, v57
	v_add_f16_e32 v12, v3, v11
	v_add_f16_e32 v36, v16, v14
	;; [unrolled: 1-line block ×3, first 2 shown]
	v_sub_f16_e32 v59, v14, v18
	v_add_f16_e32 v14, v18, v14
	v_sub_f16_e32 v62, v11, v10
	v_fma_f16 v11, v45, v40, -v13
	v_fma_f16 v37, v46, v88, -v37
	v_fmac_f16_e32 v38, v54, v45
	v_fmac_f16_e32 v39, v55, v46
	v_mul_f16_e32 v40, v50, v9
	v_mul_f16_e32 v45, v53, v56
	;; [unrolled: 1-line block ×3, first 2 shown]
	s_wait_dscnt 0xd
	v_mul_f16_e32 v54, v89, v56
	s_wait_loadcnt 0x6
	v_lshrrev_b32_e32 v55, 16, v63
	v_lshrrev_b32_e32 v56, 16, v64
	v_add_f16_e32 v13, v18, v36
	v_fmac_f16_e32 v16, -0.5, v14
	v_add_f16_e32 v14, v11, v37
	v_sub_f16_e32 v36, v38, v39
	v_add_f16_e32 v18, v38, v39
	v_add_f16_e32 v61, v15, v11
	;; [unrolled: 1-line block ×3, first 2 shown]
	v_fma_f16 v40, v51, v43, -v40
	v_fma_f16 v43, v52, v89, -v45
	v_fmac_f16_e32 v46, v50, v51
	v_fmac_f16_e32 v54, v53, v52
	v_mul_f16_e32 v45, v26, v55
	v_mul_f16_e32 v50, v28, v56
	;; [unrolled: 1-line block ×3, first 2 shown]
	s_wait_dscnt 0xc
	v_mul_f16_e32 v52, v90, v56
	s_wait_loadcnt 0x5
	v_lshrrev_b32_e32 v53, 16, v65
	v_lshrrev_b32_e32 v55, 16, v66
	v_fmac_f16_e32 v3, -0.5, v57
	v_sub_f16_e32 v57, v11, v37
	v_fmamk_f16 v11, v62, 0x3aee, v16
	v_fmac_f16_e32 v16, 0xbaee, v62
	v_fma_f16 v14, -0.5, v14, v15
	v_fma_f16 v15, -0.5, v18, v25
	v_add_f16_e32 v18, v61, v37
	v_add_f16_e32 v25, v38, v39
	v_add_f16_e32 v37, v40, v43
	v_sub_f16_e32 v56, v46, v54
	v_add_f16_e32 v38, v46, v54
	s_wait_dscnt 0x7
	v_add_f16_e32 v39, v95, v40
	v_add_f16_e32 v46, v48, v46
	v_fma_f16 v45, v63, v86, -v45
	v_fma_f16 v50, v64, v90, -v50
	v_fmac_f16_e32 v51, v26, v63
	v_fmac_f16_e32 v52, v28, v64
	v_mul_f16_e32 v61, v44, v53
	v_mul_f16_e32 v62, v49, v55
	;; [unrolled: 1-line block ×4, first 2 shown]
	s_wait_loadcnt 0x4
	v_lshrrev_b32_e32 v63, 16, v67
	v_lshrrev_b32_e32 v64, 16, v68
	v_add_f16_e32 v12, v10, v12
	v_fmamk_f16 v10, v59, 0xbaee, v3
	v_fmac_f16_e32 v3, 0x3aee, v59
	v_sub_f16_e32 v59, v40, v43
	v_fmamk_f16 v26, v36, 0xbaee, v14
	v_fmamk_f16 v28, v57, 0x3aee, v15
	v_fmac_f16_e32 v14, 0x3aee, v36
	v_fmac_f16_e32 v15, 0xbaee, v57
	v_fma_f16 v36, -0.5, v37, v95
	v_fma_f16 v37, -0.5, v38, v48
	v_add_f16_e32 v40, v39, v43
	v_add_f16_e32 v43, v46, v54
	;; [unrolled: 1-line block ×4, first 2 shown]
	v_sub_f16_e32 v57, v45, v50
	s_wait_dscnt 0x6
	v_add_f16_e32 v45, v96, v45
	v_fma_f16 v61, v65, v87, -v61
	v_fma_f16 v62, v66, v91, -v62
	v_fmac_f16_e32 v53, v44, v65
	v_fmac_f16_e32 v55, v49, v66
	v_mul_f16_e32 v49, v34, v63
	v_mul_f16_e32 v65, v42, v64
	;; [unrolled: 1-line block ×4, first 2 shown]
	s_wait_loadcnt 0x3
	v_lshrrev_b32_e32 v66, 16, v69
	v_lshrrev_b32_e32 v86, 16, v70
	v_sub_f16_e32 v48, v51, v52
	v_add_f16_e32 v51, v41, v51
	v_fmamk_f16 v38, v56, 0xbaee, v36
	v_fmamk_f16 v39, v59, 0x3aee, v37
	v_fmac_f16_e32 v36, 0x3aee, v56
	v_fmac_f16_e32 v37, 0xbaee, v59
	v_fma_f16 v41, -0.5, v54, v41
	v_add_f16_e32 v45, v45, v50
	v_add_f16_e32 v50, v61, v62
	v_sub_f16_e32 v54, v61, v62
	s_wait_dscnt 0x5
	v_add_f16_e32 v56, v97, v61
	v_fma_f16 v49, v67, v47, -v49
	v_fma_f16 v59, v68, v92, -v65
	v_fmac_f16_e32 v63, v34, v67
	v_fmac_f16_e32 v64, v42, v68
	v_mul_f16_e32 v61, v31, v66
	v_mul_f16_e32 v65, v35, v86
	;; [unrolled: 1-line block ×4, first 2 shown]
	s_wait_loadcnt 0x2
	v_lshrrev_b32_e32 v68, 16, v71
	v_lshrrev_b32_e32 v86, 16, v72
	v_fma_f16 v44, -0.5, v46, v96
	v_add_f16_e32 v46, v51, v52
	v_sub_f16_e32 v51, v53, v55
	v_add_f16_e32 v52, v53, v55
	v_add_f16_e32 v53, v33, v53
	v_fma_f16 v47, -0.5, v50, v97
	v_add_f16_e32 v56, v56, v62
	v_add_f16_e32 v50, v49, v59
	;; [unrolled: 1-line block ×3, first 2 shown]
	v_fma_f16 v58, v69, v58, -v61
	v_fma_f16 v61, v70, v93, -v65
	v_fmac_f16_e32 v66, v31, v69
	v_fmac_f16_e32 v67, v35, v70
	v_mul_f16_e32 v35, v24, v68
	v_mul_f16_e32 v65, v60, v68
	;; [unrolled: 1-line block ×3, first 2 shown]
	s_wait_loadcnt 0x1
	v_lshrrev_b32_e32 v69, 16, v73
	v_lshrrev_b32_e32 v70, 16, v74
	v_fmamk_f16 v34, v48, 0xbaee, v44
	v_fmamk_f16 v42, v57, 0x3aee, v41
	v_fmac_f16_e32 v44, 0x3aee, v48
	v_fmac_f16_e32 v41, 0xbaee, v57
	v_fma_f16 v48, -0.5, v52, v33
	v_add_f16_e32 v57, v53, v55
	v_sub_f16_e32 v52, v63, v64
	v_add_f16_e32 v53, v63, v64
	v_sub_f16_e32 v55, v49, v59
	s_wait_dscnt 0x4
	v_add_f16_e32 v49, v98, v49
	v_mul_f16_e32 v63, v32, v86
	v_fma_f16 v86, -0.5, v50, v98
	v_add_f16_e32 v62, v62, v64
	v_add_f16_e32 v50, v66, v67
	v_fma_f16 v35, v71, v60, -v35
	v_fmac_f16_e32 v65, v24, v71
	v_fmac_f16_e32 v68, v32, v72
	v_mul_f16_e32 v24, v27, v69
	v_mul_f16_e32 v32, v29, v70
	;; [unrolled: 1-line block ×3, first 2 shown]
	s_wait_loadcnt 0x0
	v_lshrrev_b32_e32 v64, 16, v75
	v_fmamk_f16 v31, v51, 0xbaee, v47
	v_fmamk_f16 v33, v54, 0x3aee, v48
	v_fmac_f16_e32 v47, 0x3aee, v51
	v_fmac_f16_e32 v48, 0xbaee, v54
	v_fma_f16 v87, -0.5, v53, v30
	v_add_f16_e32 v59, v49, v59
	v_add_f16_e32 v30, v58, v61
	v_sub_f16_e32 v49, v66, v67
	v_sub_f16_e32 v51, v58, v61
	s_wait_dscnt 0x3
	v_add_f16_e32 v53, v99, v58
	v_add_f16_e32 v54, v23, v66
	v_fma_f16 v58, v72, v94, -v63
	v_mul_f16_e32 v63, v84, v70
	v_lshrrev_b32_e32 v66, 16, v76
	v_fma_f16 v72, -0.5, v50, v23
	v_add_f16_e32 v50, v65, v68
	v_fma_f16 v24, v73, v81, -v24
	v_fma_f16 v32, v74, v84, -v32
	v_fmac_f16_e32 v60, v27, v73
	v_mul_f16_e32 v27, v21, v64
	v_fmamk_f16 v70, v55, 0x3aee, v87
	v_fmac_f16_e32 v87, 0xbaee, v55
	v_fma_f16 v71, -0.5, v30, v99
	v_add_f16_e32 v61, v53, v61
	v_add_f16_e32 v67, v54, v67
	v_add_f16_e32 v23, v35, v58
	v_add_f16_e32 v53, v20, v65
	v_fmac_f16_e32 v63, v29, v74
	v_mul_f16_e32 v29, v22, v66
	v_mul_f16_e32 v54, v82, v64
	;; [unrolled: 1-line block ×3, first 2 shown]
	v_fma_f16 v73, -0.5, v50, v20
	v_add_f16_e32 v20, v24, v32
	v_fma_f16 v27, v75, v82, -v27
	v_fmamk_f16 v69, v52, 0xbaee, v86
	v_fmac_f16_e32 v86, 0x3aee, v52
	v_sub_f16_e32 v52, v35, v58
	s_wait_dscnt 0x2
	v_add_f16_e32 v35, v100, v35
	v_fmamk_f16 v64, v49, 0xbaee, v71
	v_fmac_f16_e32 v71, 0x3aee, v49
	v_fma_f16 v66, -0.5, v23, v100
	v_sub_f16_e32 v23, v60, v63
	v_add_f16_e32 v49, v60, v63
	v_fma_f16 v29, v76, v85, -v29
	v_fmac_f16_e32 v54, v21, v75
	v_fmac_f16_e32 v55, v22, v76
	s_wait_dscnt 0x1
	v_fma_f16 v74, -0.5, v20, v101
	s_wait_dscnt 0x0
	v_add_f16_e32 v21, v102, v27
	v_sub_f16_e32 v30, v65, v68
	v_fmamk_f16 v65, v51, 0x3aee, v72
	v_fmac_f16_e32 v72, 0xbaee, v51
	v_add_f16_e32 v35, v35, v58
	v_add_f16_e32 v58, v53, v68
	v_sub_f16_e32 v50, v24, v32
	v_add_f16_e32 v24, v101, v24
	v_add_f16_e32 v51, v19, v60
	v_fma_f16 v75, -0.5, v49, v19
	v_add_f16_e32 v19, v27, v29
	v_add_f16_e32 v20, v54, v55
	v_sub_f16_e32 v53, v27, v29
	v_add_f16_e32 v22, v17, v54
	v_fmamk_f16 v27, v23, 0xbaee, v74
	v_fmac_f16_e32 v74, 0x3aee, v23
	v_add_f16_e32 v23, v21, v29
	v_sub_nc_u32_e32 v29, v83, v104
	v_add_co_u32 v21, vcc_lo, v0, v79
	v_fmamk_f16 v68, v52, 0x3aee, v73
	v_fmac_f16_e32 v73, 0xbaee, v52
	v_add_f16_e32 v32, v24, v32
	v_sub_f16_e32 v52, v54, v55
	v_fma_f16 v54, -0.5, v19, v102
	v_fma_f16 v76, -0.5, v20, v17
	v_add_f16_e32 v24, v22, v55
	v_mad_co_u64_u32 v[19:20], null, s16, v106, 0
	s_wait_alu 0xfffd
	v_add_co_ci_u32_e32 v22, vcc_lo, v1, v80, vcc_lo
	v_mad_u32_u24 v80, 0x693, v103, v29
	v_mov_b32_e32 v17, v78
	v_fmamk_f16 v60, v30, 0xbaee, v66
	v_fmac_f16_e32 v66, 0x3aee, v30
	v_pack_b32_f16 v79, v24, v23
	v_mad_co_u64_u32 v[29:30], null, s16, v80, 0
	v_mad_co_u64_u32 v[23:24], null, s17, v105, v[17:18]
	v_mov_b32_e32 v17, v20
	v_add_f16_e32 v51, v51, v63
	v_fmamk_f16 v63, v50, 0x3aee, v75
	v_fmac_f16_e32 v75, 0xbaee, v50
	v_fmamk_f16 v55, v52, 0xbaee, v54
	v_mad_co_u64_u32 v[49:50], null, s17, v106, v[17:18]
	v_dual_mov_b32 v17, v30 :: v_dual_mov_b32 v78, v23
	v_fmac_f16_e32 v54, 0x3aee, v52
	v_fmamk_f16 v82, v53, 0x3aee, v76
	v_fmac_f16_e32 v76, 0xbaee, v53
	s_delay_alu instid0(VALU_DEP_4)
	v_mad_co_u64_u32 v[23:24], null, s17, v80, v[17:18]
	v_add_nc_u32_e32 v81, 0x66, v7
	v_dual_mov_b32 v20, v49 :: v_dual_add_nc_u32 v53, 0x231, v80
	global_store_b32 v[21:22], v79, off
	v_lshlrev_b64_e32 v[21:22], 2, v[77:78]
	v_mul_hi_u32 v50, 0xd347a4bd, v81
	v_pack_b32_f16 v76, v76, v54
	v_pack_b32_f16 v77, v82, v55
	v_add_nc_u32_e32 v54, 0x462, v80
	v_lshlrev_b64_e32 v[19:20], 2, v[19:20]
	v_add_nc_u32_e32 v79, 0x99, v7
	v_add_co_u32 v21, vcc_lo, v0, v21
	v_sub_nc_u32_e32 v30, v81, v50
	s_wait_alu 0xfffd
	v_add_co_ci_u32_e32 v22, vcc_lo, v1, v22, vcc_lo
	v_add_co_u32 v19, vcc_lo, v0, v19
	s_delay_alu instid0(VALU_DEP_3)
	v_lshrrev_b32_e32 v17, 1, v30
	v_mov_b32_e32 v30, v23
	v_pack_b32_f16 v32, v51, v32
	v_mul_hi_u32 v80, 0xd347a4bd, v79
	s_wait_alu 0xfffd
	v_add_co_ci_u32_e32 v20, vcc_lo, v1, v20, vcc_lo
	v_add_nc_u32_e32 v17, v17, v50
	v_lshlrev_b64_e32 v[23:24], 2, v[29:30]
	v_mad_co_u64_u32 v[29:30], null, s16, v53, 0
	v_mad_co_u64_u32 v[49:50], null, s16, v54, 0
	s_delay_alu instid0(VALU_DEP_4) | instskip(NEXT) | instid1(VALU_DEP_4)
	v_lshrrev_b32_e32 v52, 9, v17
	v_add_co_u32 v23, vcc_lo, v0, v23
	s_wait_alu 0xfffd
	v_add_co_ci_u32_e32 v24, vcc_lo, v1, v24, vcc_lo
	s_delay_alu instid0(VALU_DEP_3)
	v_mul_u32_u24_e32 v17, 0x231, v52
	s_clause 0x2
	global_store_b32 v[21:22], v76, off
	global_store_b32 v[19:20], v77, off
	;; [unrolled: 1-line block ×3, first 2 shown]
	v_sub_nc_u32_e32 v23, v79, v80
	v_pack_b32_f16 v27, v63, v27
	v_sub_nc_u32_e32 v55, v81, v17
	v_mov_b32_e32 v17, v30
	v_pack_b32_f16 v32, v75, v74
	v_pack_b32_f16 v35, v58, v35
	;; [unrolled: 1-line block ×3, first 2 shown]
	v_mad_u32_u24 v78, 0x693, v52, v55
	v_mad_co_u64_u32 v[51:52], null, s17, v53, v[17:18]
	v_mov_b32_e32 v17, v50
	v_pack_b32_f16 v36, v37, v36
	s_delay_alu instid0(VALU_DEP_4) | instskip(SKIP_1) | instid1(VALU_DEP_4)
	v_mad_co_u64_u32 v[52:53], null, s16, v78, 0
	v_pack_b32_f16 v37, v39, v38
	v_mad_co_u64_u32 v[54:55], null, s17, v54, v[17:18]
	v_dual_mov_b32 v30, v51 :: v_dual_add_nc_u32 v51, 0x231, v78
	v_add_nc_u32_e32 v55, 0x462, v78
	v_mov_b32_e32 v17, v53
	v_pack_b32_f16 v25, v25, v18
	s_delay_alu instid0(VALU_DEP_4) | instskip(SKIP_4) | instid1(VALU_DEP_4)
	v_lshlrev_b64_e32 v[19:20], 2, v[29:30]
	v_mov_b32_e32 v50, v54
	v_mad_co_u64_u32 v[29:30], null, s16, v51, 0
	v_mad_co_u64_u32 v[21:22], null, s17, v78, v[17:18]
	v_lshrrev_b32_e32 v17, 1, v23
	v_lshlrev_b64_e32 v[22:23], 2, v[49:50]
	v_add_co_u32 v19, vcc_lo, v0, v19
	s_wait_alu 0xfffd
	v_add_co_ci_u32_e32 v20, vcc_lo, v1, v20, vcc_lo
	v_add_nc_u32_e32 v17, v17, v80
	v_mov_b32_e32 v53, v21
	v_add_co_u32 v21, vcc_lo, v0, v22
	s_wait_alu 0xfffd
	v_add_co_ci_u32_e32 v22, vcc_lo, v1, v23, vcc_lo
	v_lshrrev_b32_e32 v54, 9, v17
	v_mov_b32_e32 v17, v30
	v_lshlrev_b64_e32 v[23:24], 2, v[52:53]
	v_mad_co_u64_u32 v[49:50], null, s16, v55, 0
	s_delay_alu instid0(VALU_DEP_4) | instskip(NEXT) | instid1(VALU_DEP_4)
	v_mul_u32_u24_e32 v63, 0x231, v54
	v_mad_co_u64_u32 v[51:52], null, s17, v51, v[17:18]
	s_delay_alu instid0(VALU_DEP_4) | instskip(NEXT) | instid1(VALU_DEP_3)
	v_add_co_u32 v23, vcc_lo, v0, v23
	v_sub_nc_u32_e32 v30, v79, v63
	s_wait_alu 0xfffd
	v_add_co_ci_u32_e32 v24, vcc_lo, v1, v24, vcc_lo
	s_clause 0x1
	global_store_b32 v[19:20], v32, off
	global_store_b32 v[21:22], v27, off
	v_mad_u32_u24 v63, 0x693, v54, v30
	v_add_nc_u32_e32 v27, 0xcc, v7
	v_mov_b32_e32 v17, v50
	global_store_b32 v[23:24], v35, off
	v_mov_b32_e32 v30, v51
	v_mad_co_u64_u32 v[52:53], null, s16, v63, 0
	v_mul_hi_u32 v24, 0xd347a4bd, v27
	v_mad_co_u64_u32 v[54:55], null, s17, v55, v[17:18]
	v_add_nc_u32_e32 v35, 0x231, v63
	v_lshlrev_b64_e32 v[19:20], 2, v[29:30]
	v_add_nc_u32_e32 v55, 0x462, v63
	v_mov_b32_e32 v17, v53
	v_pack_b32_f16 v32, v73, v66
	v_mad_co_u64_u32 v[29:30], null, s16, v35, 0
	v_mov_b32_e32 v50, v54
	s_delay_alu instid0(VALU_DEP_4) | instskip(SKIP_2) | instid1(VALU_DEP_4)
	v_mad_co_u64_u32 v[21:22], null, s17, v63, v[17:18]
	v_sub_nc_u32_e32 v17, v27, v24
	v_add_co_u32 v19, vcc_lo, v0, v19
	v_lshlrev_b64_e32 v[22:23], 2, v[49:50]
	s_wait_alu 0xfffd
	v_add_co_ci_u32_e32 v20, vcc_lo, v1, v20, vcc_lo
	v_lshrrev_b32_e32 v17, 1, v17
	v_mov_b32_e32 v53, v21
	v_pack_b32_f16 v54, v68, v60
	v_add_co_u32 v21, vcc_lo, v0, v22
	s_delay_alu instid0(VALU_DEP_4)
	v_add_nc_u32_e32 v49, v17, v24
	v_mov_b32_e32 v17, v30
	s_wait_alu 0xfffd
	v_add_co_ci_u32_e32 v22, vcc_lo, v1, v23, vcc_lo
	v_lshlrev_b64_e32 v[23:24], 2, v[52:53]
	v_lshrrev_b32_e32 v58, 9, v49
	v_mad_co_u64_u32 v[49:50], null, s16, v55, 0
	v_mad_co_u64_u32 v[51:52], null, s17, v35, v[17:18]
	s_delay_alu instid0(VALU_DEP_3) | instskip(SKIP_3) | instid1(VALU_DEP_4)
	v_mul_u32_u24_e32 v30, 0x231, v58
	v_add_nc_u32_e32 v60, 0xff, v7
	v_add_co_u32 v23, vcc_lo, v0, v23
	v_mov_b32_e32 v17, v50
	v_sub_nc_u32_e32 v27, v27, v30
	v_mov_b32_e32 v30, v51
	v_mul_hi_u32 v51, 0xd347a4bd, v60
	s_wait_alu 0xfffd
	v_add_co_ci_u32_e32 v24, vcc_lo, v1, v24, vcc_lo
	v_mad_u32_u24 v27, 0x693, v58, v27
	v_pack_b32_f16 v35, v67, v61
	s_clause 0x2
	global_store_b32 v[19:20], v32, off
	global_store_b32 v[21:22], v54, off
	global_store_b32 v[23:24], v35, off
	v_mad_co_u64_u32 v[21:22], null, s16, v27, 0
	v_mad_co_u64_u32 v[52:53], null, s17, v55, v[17:18]
	v_sub_nc_u32_e32 v17, v60, v51
	v_add_nc_u32_e32 v32, 0x231, v27
	v_lshlrev_b64_e32 v[19:20], 2, v[29:30]
	v_pack_b32_f16 v35, v72, v71
	v_pack_b32_f16 v53, v65, v64
	v_lshrrev_b32_e32 v29, 1, v17
	v_mov_b32_e32 v17, v22
	v_mad_co_u64_u32 v[23:24], null, s16, v32, 0
	v_mov_b32_e32 v50, v52
	s_delay_alu instid0(VALU_DEP_4)
	v_add_nc_u32_e32 v22, v29, v51
	v_add_co_u32 v19, vcc_lo, v0, v19
	s_wait_alu 0xfffd
	v_add_co_ci_u32_e32 v20, vcc_lo, v1, v20, vcc_lo
	v_lshlrev_b64_e32 v[29:30], 2, v[49:50]
	v_mad_co_u64_u32 v[49:50], null, s17, v27, v[17:18]
	v_mov_b32_e32 v17, v24
	v_lshrrev_b32_e32 v24, 9, v22
	v_add_nc_u32_e32 v27, 0x462, v27
	v_add_co_u32 v29, vcc_lo, v0, v29
	s_delay_alu instid0(VALU_DEP_4) | instskip(NEXT) | instid1(VALU_DEP_4)
	v_mad_co_u64_u32 v[50:51], null, s17, v32, v[17:18]
	v_mul_u32_u24_e32 v52, 0x231, v24
	v_mov_b32_e32 v22, v49
	s_wait_alu 0xfffd
	v_add_co_ci_u32_e32 v30, vcc_lo, v1, v30, vcc_lo
	s_clause 0x1
	global_store_b32 v[19:20], v35, off
	global_store_b32 v[29:30], v53, off
	v_sub_nc_u32_e32 v17, v60, v52
	v_lshlrev_b64_e32 v[19:20], 2, v[21:22]
	v_mad_co_u64_u32 v[21:22], null, s16, v27, 0
	v_add_nc_u32_e32 v35, 0x132, v7
	s_delay_alu instid0(VALU_DEP_4) | instskip(SKIP_2) | instid1(VALU_DEP_4)
	v_mad_u32_u24 v32, 0x693, v24, v17
	v_mov_b32_e32 v24, v50
	v_add_co_u32 v19, vcc_lo, v0, v19
	v_mul_hi_u32 v54, 0xd347a4bd, v35
	s_delay_alu instid0(VALU_DEP_4) | instskip(NEXT) | instid1(VALU_DEP_4)
	v_mad_co_u64_u32 v[29:30], null, s16, v32, 0
	v_lshlrev_b64_e32 v[23:24], 2, v[23:24]
	v_mov_b32_e32 v17, v22
	v_add_nc_u32_e32 v55, 0x231, v32
	s_wait_alu 0xfffd
	v_add_co_ci_u32_e32 v20, vcc_lo, v1, v20, vcc_lo
	v_pack_b32_f16 v53, v62, v59
	v_mov_b32_e32 v22, v30
	v_mad_co_u64_u32 v[49:50], null, s17, v27, v[17:18]
	v_sub_nc_u32_e32 v17, v35, v54
	v_pack_b32_f16 v27, v87, v86
	s_delay_alu instid0(VALU_DEP_4)
	v_mad_co_u64_u32 v[50:51], null, s17, v32, v[22:23]
	v_mad_co_u64_u32 v[51:52], null, s16, v55, 0
	v_add_co_u32 v23, vcc_lo, v0, v23
	s_wait_alu 0xfffd
	v_add_co_ci_u32_e32 v24, vcc_lo, v1, v24, vcc_lo
	global_store_b32 v[19:20], v53, off
	v_lshrrev_b32_e32 v19, 1, v17
	v_mov_b32_e32 v17, v52
	global_store_b32 v[23:24], v27, off
	v_mov_b32_e32 v22, v49
	v_dual_mov_b32 v30, v50 :: v_dual_add_nc_u32 v27, v19, v54
	v_add_nc_u32_e32 v54, 0x165, v7
	v_mad_co_u64_u32 v[23:24], null, s17, v55, v[17:18]
	v_add_nc_u32_e32 v32, 0x462, v32
	s_delay_alu instid0(VALU_DEP_4)
	v_lshrrev_b32_e32 v17, 9, v27
	v_lshlrev_b64_e32 v[19:20], 2, v[21:22]
	v_lshlrev_b64_e32 v[21:22], 2, v[29:30]
	v_pack_b32_f16 v53, v70, v69
	v_mad_co_u64_u32 v[29:30], null, s16, v32, 0
	v_mul_u32_u24_e32 v24, 0x231, v17
	v_mov_b32_e32 v52, v23
	v_add_co_u32 v19, vcc_lo, v0, v19
	s_wait_alu 0xfffd
	v_add_co_ci_u32_e32 v20, vcc_lo, v1, v20, vcc_lo
	v_sub_nc_u32_e32 v27, v35, v24
	v_pack_b32_f16 v35, v57, v56
	v_mul_hi_u32 v56, 0xd347a4bd, v54
	v_lshlrev_b64_e32 v[23:24], 2, v[51:52]
	v_pack_b32_f16 v57, v48, v47
	v_mad_u32_u24 v55, 0x693, v17, v27
	v_mov_b32_e32 v17, v30
	v_add_co_u32 v21, vcc_lo, v0, v21
	s_wait_alu 0xfffd
	v_add_co_ci_u32_e32 v22, vcc_lo, v1, v22, vcc_lo
	v_mad_co_u64_u32 v[49:50], null, s16, v55, 0
	v_sub_nc_u32_e32 v30, v54, v56
	v_mad_co_u64_u32 v[47:48], null, s17, v32, v[17:18]
	v_add_nc_u32_e32 v32, 0x231, v55
	v_add_co_u32 v23, vcc_lo, v0, v23
	v_mov_b32_e32 v27, v50
	v_lshrrev_b32_e32 v17, 1, v30
	s_wait_alu 0xfffd
	v_add_co_ci_u32_e32 v24, vcc_lo, v1, v24, vcc_lo
	v_mov_b32_e32 v30, v47
	v_mad_co_u64_u32 v[50:51], null, s17, v55, v[27:28]
	v_add_nc_u32_e32 v17, v17, v56
	v_mad_co_u64_u32 v[51:52], null, s16, v32, 0
	s_clause 0x2
	global_store_b32 v[19:20], v53, off
	global_store_b32 v[21:22], v35, off
	;; [unrolled: 1-line block ×3, first 2 shown]
	v_lshlrev_b64_e32 v[19:20], 2, v[29:30]
	v_lshrrev_b32_e32 v24, 9, v17
	v_add_nc_u32_e32 v27, 0x462, v55
	v_pack_b32_f16 v35, v33, v31
	v_pack_b32_f16 v3, v16, v3
	v_mov_b32_e32 v17, v52
	v_mul_u32_u24_e32 v29, 0x231, v24
	v_add_co_u32 v19, vcc_lo, v0, v19
	s_wait_alu 0xfffd
	v_add_co_ci_u32_e32 v20, vcc_lo, v1, v20, vcc_lo
	v_mad_co_u64_u32 v[21:22], null, s17, v32, v[17:18]
	v_sub_nc_u32_e32 v17, v54, v29
	v_mad_co_u64_u32 v[22:23], null, s16, v27, 0
	v_lshlrev_b64_e32 v[29:30], 2, v[49:50]
	global_store_b32 v[19:20], v35, off
	v_mad_u32_u24 v48, 0x693, v24, v17
	v_mov_b32_e32 v52, v21
	v_pack_b32_f16 v21, v46, v45
	v_pack_b32_f16 v16, v6, v5
	v_mov_b32_e32 v17, v23
	v_mad_co_u64_u32 v[31:32], null, s16, v48, 0
	v_lshlrev_b64_e32 v[23:24], 2, v[51:52]
	v_add_co_u32 v29, vcc_lo, v0, v29
	s_delay_alu instid0(VALU_DEP_4)
	v_mad_co_u64_u32 v[45:46], null, s17, v27, v[17:18]
	v_add_nc_u32_e32 v27, 0x198, v7
	s_wait_alu 0xfffd
	v_add_co_ci_u32_e32 v30, vcc_lo, v1, v30, vcc_lo
	v_mov_b32_e32 v17, v32
	v_add_co_u32 v32, vcc_lo, v0, v23
	s_wait_alu 0xfffd
	v_add_co_ci_u32_e32 v33, vcc_lo, v1, v24, vcc_lo
	v_pack_b32_f16 v24, v41, v44
	v_mul_hi_u32 v41, 0xd347a4bd, v27
	v_mad_co_u64_u32 v[46:47], null, s17, v48, v[17:18]
	v_mov_b32_e32 v23, v45
	s_clause 0x1
	global_store_b32 v[29:30], v21, off
	global_store_b32 v[32:33], v24, off
	v_add_nc_u32_e32 v33, 0x231, v48
	v_add_nc_u32_e32 v35, 0x462, v48
	v_fmamk_f16 v9, v108, 0x3aee, v4
	v_sub_nc_u32_e32 v17, v27, v41
	v_lshlrev_b64_e32 v[19:20], 2, v[22:23]
	v_mad_co_u64_u32 v[21:22], null, s16, v33, 0
	v_mov_b32_e32 v32, v46
	s_delay_alu instid0(VALU_DEP_4) | instskip(SKIP_2) | instid1(VALU_DEP_4)
	v_lshrrev_b32_e32 v17, 1, v17
	v_fmac_f16_e32 v4, 0xbaee, v108
	v_add_co_u32 v19, vcc_lo, v0, v19
	v_lshlrev_b64_e32 v[23:24], 2, v[31:32]
	s_delay_alu instid0(VALU_DEP_4)
	v_add_nc_u32_e32 v29, v17, v41
	v_mov_b32_e32 v17, v22
	s_wait_alu 0xfffd
	v_add_co_ci_u32_e32 v20, vcc_lo, v1, v20, vcc_lo
	v_pack_b32_f16 v2, v4, v2
	v_lshrrev_b32_e32 v41, 9, v29
	v_mad_co_u64_u32 v[31:32], null, s17, v33, v[17:18]
	v_add_co_u32 v23, vcc_lo, v0, v23
	s_delay_alu instid0(VALU_DEP_3) | instskip(SKIP_3) | instid1(VALU_DEP_3)
	v_mul_u32_u24_e32 v32, 0x231, v41
	v_mad_co_u64_u32 v[29:30], null, s16, v35, 0
	s_wait_alu 0xfffd
	v_add_co_ci_u32_e32 v24, vcc_lo, v1, v24, vcc_lo
	v_sub_nc_u32_e32 v27, v27, v32
	v_pack_b32_f16 v33, v43, v40
	v_add_nc_u32_e32 v40, 0x1cb, v7
	v_mov_b32_e32 v22, v31
	global_store_b32 v[19:20], v34, off
	v_mad_u32_u24 v27, 0x693, v41, v27
	global_store_b32 v[23:24], v33, off
	v_mul_hi_u32 v24, 0xd347a4bd, v40
	v_mov_b32_e32 v17, v30
	v_lshlrev_b64_e32 v[19:20], 2, v[21:22]
	v_mad_co_u64_u32 v[21:22], null, s16, v27, 0
	v_add_nc_u32_e32 v34, 0x231, v27
	s_delay_alu instid0(VALU_DEP_4)
	v_mad_co_u64_u32 v[30:31], null, s17, v35, v[17:18]
	v_sub_nc_u32_e32 v31, v40, v24
	v_add_co_u32 v19, vcc_lo, v0, v19
	v_mov_b32_e32 v17, v22
	s_wait_alu 0xfffd
	v_add_co_ci_u32_e32 v20, vcc_lo, v1, v20, vcc_lo
	v_lshrrev_b32_e32 v32, 1, v31
	v_lshlrev_b64_e32 v[22:23], 2, v[29:30]
	v_mad_co_u64_u32 v[29:30], null, s17, v27, v[17:18]
	v_mad_co_u64_u32 v[30:31], null, s16, v34, 0
	s_delay_alu instid0(VALU_DEP_4)
	v_add_nc_u32_e32 v24, v32, v24
	v_add_nc_u32_e32 v27, 0x462, v27
	v_add_co_u32 v32, vcc_lo, v0, v22
	s_wait_alu 0xfffd
	v_add_co_ci_u32_e32 v33, vcc_lo, v1, v23, vcc_lo
	v_lshrrev_b32_e32 v38, 9, v24
	v_mov_b32_e32 v17, v31
	v_mad_co_u64_u32 v[23:24], null, s16, v27, 0
	v_mov_b32_e32 v22, v29
	s_delay_alu instid0(VALU_DEP_4) | instskip(NEXT) | instid1(VALU_DEP_4)
	v_mul_u32_u24_e32 v29, 0x231, v38
	v_mad_co_u64_u32 v[34:35], null, s17, v34, v[17:18]
	s_clause 0x1
	global_store_b32 v[19:20], v36, off
	global_store_b32 v[32:33], v37, off
	v_add_nc_u32_e32 v33, 0x1fe, v7
	v_mov_b32_e32 v17, v24
	v_sub_nc_u32_e32 v24, v40, v29
	v_lshlrev_b64_e32 v[19:20], 2, v[21:22]
	v_pack_b32_f16 v4, v9, v8
	v_mov_b32_e32 v31, v34
	v_mad_co_u64_u32 v[21:22], null, s17, v27, v[17:18]
	v_mad_u32_u24 v27, 0x693, v38, v24
	v_mul_hi_u32 v34, 0xd347a4bd, v33
	s_delay_alu instid0(VALU_DEP_4) | instskip(SKIP_1) | instid1(VALU_DEP_4)
	v_lshlrev_b64_e32 v[29:30], 2, v[30:31]
	v_add_co_u32 v19, vcc_lo, v0, v19
	v_mad_co_u64_u32 v[31:32], null, s16, v27, 0
	v_mov_b32_e32 v24, v21
	s_wait_alu 0xfffd
	v_add_co_ci_u32_e32 v20, vcc_lo, v1, v20, vcc_lo
	v_sub_nc_u32_e32 v21, v33, v34
	v_add_co_u32 v17, vcc_lo, v0, v29
	v_mov_b32_e32 v7, v32
	s_wait_alu 0xfffd
	v_add_co_ci_u32_e32 v18, vcc_lo, v1, v30, vcc_lo
	v_lshrrev_b32_e32 v29, 1, v21
	v_lshlrev_b64_e32 v[21:22], 2, v[23:24]
	v_pack_b32_f16 v23, v15, v14
	v_mad_co_u64_u32 v[14:15], null, s17, v27, v[7:8]
	s_delay_alu instid0(VALU_DEP_4)
	v_add_nc_u32_e32 v7, v29, v34
	v_pack_b32_f16 v15, v28, v26
	v_add_co_u32 v21, vcc_lo, v0, v21
	s_wait_alu 0xfffd
	v_add_co_ci_u32_e32 v22, vcc_lo, v1, v22, vcc_lo
	v_lshrrev_b32_e32 v7, 9, v7
	s_clause 0x1
	global_store_b32 v[19:20], v25, off
	global_store_b32 v[17:18], v23, off
	v_add_nc_u32_e32 v23, 0x231, v27
	global_store_b32 v[21:22], v15, off
	v_mul_u32_u24_e32 v17, 0x231, v7
	v_dual_mov_b32 v32, v14 :: v_dual_add_nc_u32 v25, 0x462, v27
	s_delay_alu instid0(VALU_DEP_2) | instskip(SKIP_1) | instid1(VALU_DEP_3)
	v_sub_nc_u32_e32 v21, v33, v17
	v_mad_co_u64_u32 v[17:18], null, s16, v23, 0
	v_mad_co_u64_u32 v[19:20], null, s16, v25, 0
	s_delay_alu instid0(VALU_DEP_3) | instskip(SKIP_1) | instid1(VALU_DEP_4)
	v_mad_u32_u24 v26, 0x693, v7, v21
	v_lshlrev_b64_e32 v[14:15], 2, v[31:32]
	v_mov_b32_e32 v7, v18
	s_delay_alu instid0(VALU_DEP_3) | instskip(SKIP_1) | instid1(VALU_DEP_3)
	v_mad_co_u64_u32 v[21:22], null, s16, v26, 0
	v_dual_mov_b32 v18, v20 :: v_dual_add_nc_u32 v27, 0x231, v26
	v_mad_co_u64_u32 v[23:24], null, s17, v23, v[7:8]
	v_add_co_u32 v14, vcc_lo, v0, v14
	s_delay_alu instid0(VALU_DEP_4) | instskip(SKIP_3) | instid1(VALU_DEP_4)
	v_mov_b32_e32 v7, v22
	v_pack_b32_f16 v20, v13, v12
	v_mad_co_u64_u32 v[12:13], null, s17, v25, v[18:19]
	v_mov_b32_e32 v18, v23
	v_mad_co_u64_u32 v[22:23], null, s17, v26, v[7:8]
	s_wait_alu 0xfffd
	v_add_co_ci_u32_e32 v15, vcc_lo, v1, v15, vcc_lo
	v_mad_co_u64_u32 v[24:25], null, s16, v27, 0
	v_add_nc_u32_e32 v23, 0x462, v26
	global_store_b32 v[14:15], v20, off
	v_lshlrev_b64_e32 v[13:14], 2, v[17:18]
	v_mov_b32_e32 v20, v12
	v_mad_co_u64_u32 v[17:18], null, s16, v23, 0
	v_mov_b32_e32 v7, v25
	s_delay_alu instid0(VALU_DEP_4) | instskip(SKIP_2) | instid1(VALU_DEP_3)
	v_add_co_u32 v12, vcc_lo, v0, v13
	s_wait_alu 0xfffd
	v_add_co_ci_u32_e32 v13, vcc_lo, v1, v14, vcc_lo
	v_mad_co_u64_u32 v[25:26], null, s17, v27, v[7:8]
	v_mov_b32_e32 v7, v18
	v_lshlrev_b64_e32 v[14:15], 2, v[19:20]
	v_lshlrev_b64_e32 v[19:20], 2, v[21:22]
	s_delay_alu instid0(VALU_DEP_3) | instskip(NEXT) | instid1(VALU_DEP_3)
	v_mad_co_u64_u32 v[21:22], null, s17, v23, v[7:8]
	v_add_co_u32 v14, vcc_lo, v0, v14
	v_pack_b32_f16 v7, v11, v10
	v_lshlrev_b64_e32 v[10:11], 2, v[24:25]
	s_wait_alu 0xfffd
	v_add_co_ci_u32_e32 v15, vcc_lo, v1, v15, vcc_lo
	v_mov_b32_e32 v18, v21
	v_add_co_u32 v19, vcc_lo, v0, v19
	s_wait_alu 0xfffd
	v_add_co_ci_u32_e32 v20, vcc_lo, v1, v20, vcc_lo
	s_delay_alu instid0(VALU_DEP_3) | instskip(SKIP_3) | instid1(VALU_DEP_3)
	v_lshlrev_b64_e32 v[5:6], 2, v[17:18]
	v_add_co_u32 v10, vcc_lo, v0, v10
	s_wait_alu 0xfffd
	v_add_co_ci_u32_e32 v11, vcc_lo, v1, v11, vcc_lo
	v_add_co_u32 v0, vcc_lo, v0, v5
	s_wait_alu 0xfffd
	v_add_co_ci_u32_e32 v1, vcc_lo, v1, v6, vcc_lo
	s_clause 0x4
	global_store_b32 v[12:13], v3, off
	global_store_b32 v[14:15], v7, off
	;; [unrolled: 1-line block ×5, first 2 shown]
.LBB0_21:
	s_nop 0
	s_sendmsg sendmsg(MSG_DEALLOC_VGPRS)
	s_endpgm
	.section	.rodata,"a",@progbits
	.p2align	6, 0x0
	.amdhsa_kernel fft_rtc_back_len1683_factors_17_3_11_3_wgs_51_tpt_51_halfLds_half_op_CI_CI_sbrr_dirReg
		.amdhsa_group_segment_fixed_size 0
		.amdhsa_private_segment_fixed_size 0
		.amdhsa_kernarg_size 104
		.amdhsa_user_sgpr_count 2
		.amdhsa_user_sgpr_dispatch_ptr 0
		.amdhsa_user_sgpr_queue_ptr 0
		.amdhsa_user_sgpr_kernarg_segment_ptr 1
		.amdhsa_user_sgpr_dispatch_id 0
		.amdhsa_user_sgpr_private_segment_size 0
		.amdhsa_wavefront_size32 1
		.amdhsa_uses_dynamic_stack 0
		.amdhsa_enable_private_segment 0
		.amdhsa_system_sgpr_workgroup_id_x 1
		.amdhsa_system_sgpr_workgroup_id_y 0
		.amdhsa_system_sgpr_workgroup_id_z 0
		.amdhsa_system_sgpr_workgroup_info 0
		.amdhsa_system_vgpr_workitem_id 0
		.amdhsa_next_free_vgpr 153
		.amdhsa_next_free_sgpr 43
		.amdhsa_reserve_vcc 1
		.amdhsa_float_round_mode_32 0
		.amdhsa_float_round_mode_16_64 0
		.amdhsa_float_denorm_mode_32 3
		.amdhsa_float_denorm_mode_16_64 3
		.amdhsa_fp16_overflow 0
		.amdhsa_workgroup_processor_mode 1
		.amdhsa_memory_ordered 1
		.amdhsa_forward_progress 0
		.amdhsa_round_robin_scheduling 0
		.amdhsa_exception_fp_ieee_invalid_op 0
		.amdhsa_exception_fp_denorm_src 0
		.amdhsa_exception_fp_ieee_div_zero 0
		.amdhsa_exception_fp_ieee_overflow 0
		.amdhsa_exception_fp_ieee_underflow 0
		.amdhsa_exception_fp_ieee_inexact 0
		.amdhsa_exception_int_div_zero 0
	.end_amdhsa_kernel
	.text
.Lfunc_end0:
	.size	fft_rtc_back_len1683_factors_17_3_11_3_wgs_51_tpt_51_halfLds_half_op_CI_CI_sbrr_dirReg, .Lfunc_end0-fft_rtc_back_len1683_factors_17_3_11_3_wgs_51_tpt_51_halfLds_half_op_CI_CI_sbrr_dirReg
                                        ; -- End function
	.section	.AMDGPU.csdata,"",@progbits
; Kernel info:
; codeLenInByte = 29136
; NumSgprs: 45
; NumVgprs: 153
; ScratchSize: 0
; MemoryBound: 0
; FloatMode: 240
; IeeeMode: 1
; LDSByteSize: 0 bytes/workgroup (compile time only)
; SGPRBlocks: 5
; VGPRBlocks: 19
; NumSGPRsForWavesPerEU: 45
; NumVGPRsForWavesPerEU: 153
; Occupancy: 9
; WaveLimiterHint : 1
; COMPUTE_PGM_RSRC2:SCRATCH_EN: 0
; COMPUTE_PGM_RSRC2:USER_SGPR: 2
; COMPUTE_PGM_RSRC2:TRAP_HANDLER: 0
; COMPUTE_PGM_RSRC2:TGID_X_EN: 1
; COMPUTE_PGM_RSRC2:TGID_Y_EN: 0
; COMPUTE_PGM_RSRC2:TGID_Z_EN: 0
; COMPUTE_PGM_RSRC2:TIDIG_COMP_CNT: 0
	.text
	.p2alignl 7, 3214868480
	.fill 96, 4, 3214868480
	.type	__hip_cuid_89e6202ef194976d,@object ; @__hip_cuid_89e6202ef194976d
	.section	.bss,"aw",@nobits
	.globl	__hip_cuid_89e6202ef194976d
__hip_cuid_89e6202ef194976d:
	.byte	0                               ; 0x0
	.size	__hip_cuid_89e6202ef194976d, 1

	.ident	"AMD clang version 19.0.0git (https://github.com/RadeonOpenCompute/llvm-project roc-6.4.0 25133 c7fe45cf4b819c5991fe208aaa96edf142730f1d)"
	.section	".note.GNU-stack","",@progbits
	.addrsig
	.addrsig_sym __hip_cuid_89e6202ef194976d
	.amdgpu_metadata
---
amdhsa.kernels:
  - .args:
      - .actual_access:  read_only
        .address_space:  global
        .offset:         0
        .size:           8
        .value_kind:     global_buffer
      - .offset:         8
        .size:           8
        .value_kind:     by_value
      - .actual_access:  read_only
        .address_space:  global
        .offset:         16
        .size:           8
        .value_kind:     global_buffer
      - .actual_access:  read_only
        .address_space:  global
        .offset:         24
        .size:           8
        .value_kind:     global_buffer
      - .actual_access:  read_only
        .address_space:  global
        .offset:         32
        .size:           8
        .value_kind:     global_buffer
      - .offset:         40
        .size:           8
        .value_kind:     by_value
      - .actual_access:  read_only
        .address_space:  global
        .offset:         48
        .size:           8
        .value_kind:     global_buffer
      - .actual_access:  read_only
        .address_space:  global
        .offset:         56
        .size:           8
        .value_kind:     global_buffer
      - .offset:         64
        .size:           4
        .value_kind:     by_value
      - .actual_access:  read_only
        .address_space:  global
        .offset:         72
        .size:           8
        .value_kind:     global_buffer
      - .actual_access:  read_only
        .address_space:  global
        .offset:         80
        .size:           8
        .value_kind:     global_buffer
      - .actual_access:  read_only
        .address_space:  global
        .offset:         88
        .size:           8
        .value_kind:     global_buffer
      - .actual_access:  write_only
        .address_space:  global
        .offset:         96
        .size:           8
        .value_kind:     global_buffer
    .group_segment_fixed_size: 0
    .kernarg_segment_align: 8
    .kernarg_segment_size: 104
    .language:       OpenCL C
    .language_version:
      - 2
      - 0
    .max_flat_workgroup_size: 51
    .name:           fft_rtc_back_len1683_factors_17_3_11_3_wgs_51_tpt_51_halfLds_half_op_CI_CI_sbrr_dirReg
    .private_segment_fixed_size: 0
    .sgpr_count:     45
    .sgpr_spill_count: 0
    .symbol:         fft_rtc_back_len1683_factors_17_3_11_3_wgs_51_tpt_51_halfLds_half_op_CI_CI_sbrr_dirReg.kd
    .uniform_work_group_size: 1
    .uses_dynamic_stack: false
    .vgpr_count:     153
    .vgpr_spill_count: 0
    .wavefront_size: 32
    .workgroup_processor_mode: 1
amdhsa.target:   amdgcn-amd-amdhsa--gfx1201
amdhsa.version:
  - 1
  - 2
...

	.end_amdgpu_metadata
